;; amdgpu-corpus repo=ROCm/composable_kernel kind=compiled arch=gfx1201 opt=O3
	.amdgcn_target "amdgcn-amd-amdhsa--gfx1201"
	.amdhsa_code_object_version 6
	.section	.text._ZN2ckL12flush_icacheEv,"axG",@progbits,_ZN2ckL12flush_icacheEv,comdat
	.globl	_ZN2ckL12flush_icacheEv         ; -- Begin function _ZN2ckL12flush_icacheEv
	.p2align	8
	.type	_ZN2ckL12flush_icacheEv,@function
_ZN2ckL12flush_icacheEv:                ; @_ZN2ckL12flush_icacheEv
; %bb.0:
	;;#ASMSTART
	s_icache_inv 
	s_nop 0 
	s_nop 0 
	;; [unrolled: 1-line block ×16, first 2 shown]
	
	;;#ASMEND
	s_endpgm
	.section	.rodata,"a",@progbits
	.p2align	6, 0x0
	.amdhsa_kernel _ZN2ckL12flush_icacheEv
		.amdhsa_group_segment_fixed_size 0
		.amdhsa_private_segment_fixed_size 0
		.amdhsa_kernarg_size 0
		.amdhsa_user_sgpr_count 0
		.amdhsa_user_sgpr_dispatch_ptr 0
		.amdhsa_user_sgpr_queue_ptr 0
		.amdhsa_user_sgpr_kernarg_segment_ptr 0
		.amdhsa_user_sgpr_dispatch_id 0
		.amdhsa_user_sgpr_private_segment_size 0
		.amdhsa_wavefront_size32 1
		.amdhsa_uses_dynamic_stack 0
		.amdhsa_enable_private_segment 0
		.amdhsa_system_sgpr_workgroup_id_x 1
		.amdhsa_system_sgpr_workgroup_id_y 0
		.amdhsa_system_sgpr_workgroup_id_z 0
		.amdhsa_system_sgpr_workgroup_info 0
		.amdhsa_system_vgpr_workitem_id 0
		.amdhsa_next_free_vgpr 1
		.amdhsa_next_free_sgpr 1
		.amdhsa_reserve_vcc 0
		.amdhsa_float_round_mode_32 0
		.amdhsa_float_round_mode_16_64 0
		.amdhsa_float_denorm_mode_32 3
		.amdhsa_float_denorm_mode_16_64 3
		.amdhsa_fp16_overflow 0
		.amdhsa_workgroup_processor_mode 1
		.amdhsa_memory_ordered 1
		.amdhsa_forward_progress 1
		.amdhsa_inst_pref_size 1
		.amdhsa_round_robin_scheduling 0
		.amdhsa_exception_fp_ieee_invalid_op 0
		.amdhsa_exception_fp_denorm_src 0
		.amdhsa_exception_fp_ieee_div_zero 0
		.amdhsa_exception_fp_ieee_overflow 0
		.amdhsa_exception_fp_ieee_underflow 0
		.amdhsa_exception_fp_ieee_inexact 0
		.amdhsa_exception_int_div_zero 0
	.end_amdhsa_kernel
	.section	.text._ZN2ckL12flush_icacheEv,"axG",@progbits,_ZN2ckL12flush_icacheEv,comdat
.Lfunc_end0:
	.size	_ZN2ckL12flush_icacheEv, .Lfunc_end0-_ZN2ckL12flush_icacheEv
                                        ; -- End function
	.set _ZN2ckL12flush_icacheEv.num_vgpr, 0
	.set _ZN2ckL12flush_icacheEv.num_agpr, 0
	.set _ZN2ckL12flush_icacheEv.numbered_sgpr, 0
	.set _ZN2ckL12flush_icacheEv.num_named_barrier, 0
	.set _ZN2ckL12flush_icacheEv.private_seg_size, 0
	.set _ZN2ckL12flush_icacheEv.uses_vcc, 0
	.set _ZN2ckL12flush_icacheEv.uses_flat_scratch, 0
	.set _ZN2ckL12flush_icacheEv.has_dyn_sized_stack, 0
	.set _ZN2ckL12flush_icacheEv.has_recursion, 0
	.set _ZN2ckL12flush_icacheEv.has_indirect_call, 0
	.section	.AMDGPU.csdata,"",@progbits
; Kernel info:
; codeLenInByte = 4
; TotalNumSgprs: 0
; NumVgprs: 0
; ScratchSize: 0
; MemoryBound: 0
; FloatMode: 240
; IeeeMode: 1
; LDSByteSize: 0 bytes/workgroup (compile time only)
; SGPRBlocks: 0
; VGPRBlocks: 0
; NumSGPRsForWavesPerEU: 1
; NumVGPRsForWavesPerEU: 1
; Occupancy: 16
; WaveLimiterHint : 0
; COMPUTE_PGM_RSRC2:SCRATCH_EN: 0
; COMPUTE_PGM_RSRC2:USER_SGPR: 0
; COMPUTE_PGM_RSRC2:TRAP_HANDLER: 0
; COMPUTE_PGM_RSRC2:TGID_X_EN: 1
; COMPUTE_PGM_RSRC2:TGID_Y_EN: 0
; COMPUTE_PGM_RSRC2:TGID_Z_EN: 0
; COMPUTE_PGM_RSRC2:TIDIG_COMP_CNT: 0
	.section	.text._ZN2ck32kernel_gemm_xdlops_skip_b_lds_v1INS_48GridwiseGemm_k0mk1_k0nk1_mn_xdlops_skip_b_lds_v1ILi256EfffLNS_25InMemoryDataOperationEnumE0ENS_16TensorDescriptorINS_5TupleIJNS_5EmbedINS4_IJiiEEENS4_IJiNS_17integral_constantIiLi1EEEEEELb0EEENS_7UnMergeINS4_IJiNS7_IiLi4EEEEEELb0EEENS_11PassThroughIiEEEEENS4_IJNS_8SequenceIJLi0EEEENSI_IJLi2EEEENSI_IJLi1EEEEEEENS4_IJNSI_IJLi1ELi2EEEENSI_IJLi3ELi4EEEENSI_IJLi5EEEEEEENSI_IJLi3ELi5ELi4EEEElEENS3_INS4_IJNS5_IS6_NS4_IJS8_iEEELb0EEESE_SG_EEENS4_IJSJ_SL_SK_EEESQ_SR_lEENS3_INS4_IJSA_SG_SG_EEESW_NS4_IJSN_NSI_IJLi3EEEENSI_IJLi4EEEEEEESO_lEENS_16tensor_operation12element_wise11PassThroughES15_S15_Li16ELi128ELi4ELi16ELi16ELi4ELi1ELi2ENSI_IJLi16ELi16ELi1EEEENSI_IJLi1ELi0ELi2EEEES17_Li2ELi4ELi4ELb0ELb1ELi4ELb0ELi4ENSI_IJLi0ELi2ELi4ELi5ELi6ELi1ELi3ELi7EEEELi7ELi1EEEffSS_SX_S12_S15_S15_S15_NS_13TensorAdaptorINS4_IJNSB_IS6_Lb0EEES1B_NS_23Merge_v2_magic_divisionINS4_IJiiiiEEEEEEEENS4_IJSJ_SL_NSI_IJLi2ELi3ELi4ELi5EEEEEEENS4_IJNSI_IJLi2ELi4EEEENSI_IJLi3ELi5EEEENSI_IJLi6EEEEEEENSI_IJLi0ELi1EEEES1K_EELb1EEEvPKT0_S1Q_PT1_T2_T3_T4_T5_T6_T7_T8_,"axG",@progbits,_ZN2ck32kernel_gemm_xdlops_skip_b_lds_v1INS_48GridwiseGemm_k0mk1_k0nk1_mn_xdlops_skip_b_lds_v1ILi256EfffLNS_25InMemoryDataOperationEnumE0ENS_16TensorDescriptorINS_5TupleIJNS_5EmbedINS4_IJiiEEENS4_IJiNS_17integral_constantIiLi1EEEEEELb0EEENS_7UnMergeINS4_IJiNS7_IiLi4EEEEEELb0EEENS_11PassThroughIiEEEEENS4_IJNS_8SequenceIJLi0EEEENSI_IJLi2EEEENSI_IJLi1EEEEEEENS4_IJNSI_IJLi1ELi2EEEENSI_IJLi3ELi4EEEENSI_IJLi5EEEEEEENSI_IJLi3ELi5ELi4EEEElEENS3_INS4_IJNS5_IS6_NS4_IJS8_iEEELb0EEESE_SG_EEENS4_IJSJ_SL_SK_EEESQ_SR_lEENS3_INS4_IJSA_SG_SG_EEESW_NS4_IJSN_NSI_IJLi3EEEENSI_IJLi4EEEEEEESO_lEENS_16tensor_operation12element_wise11PassThroughES15_S15_Li16ELi128ELi4ELi16ELi16ELi4ELi1ELi2ENSI_IJLi16ELi16ELi1EEEENSI_IJLi1ELi0ELi2EEEES17_Li2ELi4ELi4ELb0ELb1ELi4ELb0ELi4ENSI_IJLi0ELi2ELi4ELi5ELi6ELi1ELi3ELi7EEEELi7ELi1EEEffSS_SX_S12_S15_S15_S15_NS_13TensorAdaptorINS4_IJNSB_IS6_Lb0EEES1B_NS_23Merge_v2_magic_divisionINS4_IJiiiiEEEEEEEENS4_IJSJ_SL_NSI_IJLi2ELi3ELi4ELi5EEEEEEENS4_IJNSI_IJLi2ELi4EEEENSI_IJLi3ELi5EEEENSI_IJLi6EEEEEEENSI_IJLi0ELi1EEEES1K_EELb1EEEvPKT0_S1Q_PT1_T2_T3_T4_T5_T6_T7_T8_,comdat
	.protected	_ZN2ck32kernel_gemm_xdlops_skip_b_lds_v1INS_48GridwiseGemm_k0mk1_k0nk1_mn_xdlops_skip_b_lds_v1ILi256EfffLNS_25InMemoryDataOperationEnumE0ENS_16TensorDescriptorINS_5TupleIJNS_5EmbedINS4_IJiiEEENS4_IJiNS_17integral_constantIiLi1EEEEEELb0EEENS_7UnMergeINS4_IJiNS7_IiLi4EEEEEELb0EEENS_11PassThroughIiEEEEENS4_IJNS_8SequenceIJLi0EEEENSI_IJLi2EEEENSI_IJLi1EEEEEEENS4_IJNSI_IJLi1ELi2EEEENSI_IJLi3ELi4EEEENSI_IJLi5EEEEEEENSI_IJLi3ELi5ELi4EEEElEENS3_INS4_IJNS5_IS6_NS4_IJS8_iEEELb0EEESE_SG_EEENS4_IJSJ_SL_SK_EEESQ_SR_lEENS3_INS4_IJSA_SG_SG_EEESW_NS4_IJSN_NSI_IJLi3EEEENSI_IJLi4EEEEEEESO_lEENS_16tensor_operation12element_wise11PassThroughES15_S15_Li16ELi128ELi4ELi16ELi16ELi4ELi1ELi2ENSI_IJLi16ELi16ELi1EEEENSI_IJLi1ELi0ELi2EEEES17_Li2ELi4ELi4ELb0ELb1ELi4ELb0ELi4ENSI_IJLi0ELi2ELi4ELi5ELi6ELi1ELi3ELi7EEEELi7ELi1EEEffSS_SX_S12_S15_S15_S15_NS_13TensorAdaptorINS4_IJNSB_IS6_Lb0EEES1B_NS_23Merge_v2_magic_divisionINS4_IJiiiiEEEEEEEENS4_IJSJ_SL_NSI_IJLi2ELi3ELi4ELi5EEEEEEENS4_IJNSI_IJLi2ELi4EEEENSI_IJLi3ELi5EEEENSI_IJLi6EEEEEEENSI_IJLi0ELi1EEEES1K_EELb1EEEvPKT0_S1Q_PT1_T2_T3_T4_T5_T6_T7_T8_ ; -- Begin function _ZN2ck32kernel_gemm_xdlops_skip_b_lds_v1INS_48GridwiseGemm_k0mk1_k0nk1_mn_xdlops_skip_b_lds_v1ILi256EfffLNS_25InMemoryDataOperationEnumE0ENS_16TensorDescriptorINS_5TupleIJNS_5EmbedINS4_IJiiEEENS4_IJiNS_17integral_constantIiLi1EEEEEELb0EEENS_7UnMergeINS4_IJiNS7_IiLi4EEEEEELb0EEENS_11PassThroughIiEEEEENS4_IJNS_8SequenceIJLi0EEEENSI_IJLi2EEEENSI_IJLi1EEEEEEENS4_IJNSI_IJLi1ELi2EEEENSI_IJLi3ELi4EEEENSI_IJLi5EEEEEEENSI_IJLi3ELi5ELi4EEEElEENS3_INS4_IJNS5_IS6_NS4_IJS8_iEEELb0EEESE_SG_EEENS4_IJSJ_SL_SK_EEESQ_SR_lEENS3_INS4_IJSA_SG_SG_EEESW_NS4_IJSN_NSI_IJLi3EEEENSI_IJLi4EEEEEEESO_lEENS_16tensor_operation12element_wise11PassThroughES15_S15_Li16ELi128ELi4ELi16ELi16ELi4ELi1ELi2ENSI_IJLi16ELi16ELi1EEEENSI_IJLi1ELi0ELi2EEEES17_Li2ELi4ELi4ELb0ELb1ELi4ELb0ELi4ENSI_IJLi0ELi2ELi4ELi5ELi6ELi1ELi3ELi7EEEELi7ELi1EEEffSS_SX_S12_S15_S15_S15_NS_13TensorAdaptorINS4_IJNSB_IS6_Lb0EEES1B_NS_23Merge_v2_magic_divisionINS4_IJiiiiEEEEEEEENS4_IJSJ_SL_NSI_IJLi2ELi3ELi4ELi5EEEEEEENS4_IJNSI_IJLi2ELi4EEEENSI_IJLi3ELi5EEEENSI_IJLi6EEEEEEENSI_IJLi0ELi1EEEES1K_EELb1EEEvPKT0_S1Q_PT1_T2_T3_T4_T5_T6_T7_T8_
	.globl	_ZN2ck32kernel_gemm_xdlops_skip_b_lds_v1INS_48GridwiseGemm_k0mk1_k0nk1_mn_xdlops_skip_b_lds_v1ILi256EfffLNS_25InMemoryDataOperationEnumE0ENS_16TensorDescriptorINS_5TupleIJNS_5EmbedINS4_IJiiEEENS4_IJiNS_17integral_constantIiLi1EEEEEELb0EEENS_7UnMergeINS4_IJiNS7_IiLi4EEEEEELb0EEENS_11PassThroughIiEEEEENS4_IJNS_8SequenceIJLi0EEEENSI_IJLi2EEEENSI_IJLi1EEEEEEENS4_IJNSI_IJLi1ELi2EEEENSI_IJLi3ELi4EEEENSI_IJLi5EEEEEEENSI_IJLi3ELi5ELi4EEEElEENS3_INS4_IJNS5_IS6_NS4_IJS8_iEEELb0EEESE_SG_EEENS4_IJSJ_SL_SK_EEESQ_SR_lEENS3_INS4_IJSA_SG_SG_EEESW_NS4_IJSN_NSI_IJLi3EEEENSI_IJLi4EEEEEEESO_lEENS_16tensor_operation12element_wise11PassThroughES15_S15_Li16ELi128ELi4ELi16ELi16ELi4ELi1ELi2ENSI_IJLi16ELi16ELi1EEEENSI_IJLi1ELi0ELi2EEEES17_Li2ELi4ELi4ELb0ELb1ELi4ELb0ELi4ENSI_IJLi0ELi2ELi4ELi5ELi6ELi1ELi3ELi7EEEELi7ELi1EEEffSS_SX_S12_S15_S15_S15_NS_13TensorAdaptorINS4_IJNSB_IS6_Lb0EEES1B_NS_23Merge_v2_magic_divisionINS4_IJiiiiEEEEEEEENS4_IJSJ_SL_NSI_IJLi2ELi3ELi4ELi5EEEEEEENS4_IJNSI_IJLi2ELi4EEEENSI_IJLi3ELi5EEEENSI_IJLi6EEEEEEENSI_IJLi0ELi1EEEES1K_EELb1EEEvPKT0_S1Q_PT1_T2_T3_T4_T5_T6_T7_T8_
	.p2align	8
	.type	_ZN2ck32kernel_gemm_xdlops_skip_b_lds_v1INS_48GridwiseGemm_k0mk1_k0nk1_mn_xdlops_skip_b_lds_v1ILi256EfffLNS_25InMemoryDataOperationEnumE0ENS_16TensorDescriptorINS_5TupleIJNS_5EmbedINS4_IJiiEEENS4_IJiNS_17integral_constantIiLi1EEEEEELb0EEENS_7UnMergeINS4_IJiNS7_IiLi4EEEEEELb0EEENS_11PassThroughIiEEEEENS4_IJNS_8SequenceIJLi0EEEENSI_IJLi2EEEENSI_IJLi1EEEEEEENS4_IJNSI_IJLi1ELi2EEEENSI_IJLi3ELi4EEEENSI_IJLi5EEEEEEENSI_IJLi3ELi5ELi4EEEElEENS3_INS4_IJNS5_IS6_NS4_IJS8_iEEELb0EEESE_SG_EEENS4_IJSJ_SL_SK_EEESQ_SR_lEENS3_INS4_IJSA_SG_SG_EEESW_NS4_IJSN_NSI_IJLi3EEEENSI_IJLi4EEEEEEESO_lEENS_16tensor_operation12element_wise11PassThroughES15_S15_Li16ELi128ELi4ELi16ELi16ELi4ELi1ELi2ENSI_IJLi16ELi16ELi1EEEENSI_IJLi1ELi0ELi2EEEES17_Li2ELi4ELi4ELb0ELb1ELi4ELb0ELi4ENSI_IJLi0ELi2ELi4ELi5ELi6ELi1ELi3ELi7EEEELi7ELi1EEEffSS_SX_S12_S15_S15_S15_NS_13TensorAdaptorINS4_IJNSB_IS6_Lb0EEES1B_NS_23Merge_v2_magic_divisionINS4_IJiiiiEEEEEEEENS4_IJSJ_SL_NSI_IJLi2ELi3ELi4ELi5EEEEEEENS4_IJNSI_IJLi2ELi4EEEENSI_IJLi3ELi5EEEENSI_IJLi6EEEEEEENSI_IJLi0ELi1EEEES1K_EELb1EEEvPKT0_S1Q_PT1_T2_T3_T4_T5_T6_T7_T8_,@function
_ZN2ck32kernel_gemm_xdlops_skip_b_lds_v1INS_48GridwiseGemm_k0mk1_k0nk1_mn_xdlops_skip_b_lds_v1ILi256EfffLNS_25InMemoryDataOperationEnumE0ENS_16TensorDescriptorINS_5TupleIJNS_5EmbedINS4_IJiiEEENS4_IJiNS_17integral_constantIiLi1EEEEEELb0EEENS_7UnMergeINS4_IJiNS7_IiLi4EEEEEELb0EEENS_11PassThroughIiEEEEENS4_IJNS_8SequenceIJLi0EEEENSI_IJLi2EEEENSI_IJLi1EEEEEEENS4_IJNSI_IJLi1ELi2EEEENSI_IJLi3ELi4EEEENSI_IJLi5EEEEEEENSI_IJLi3ELi5ELi4EEEElEENS3_INS4_IJNS5_IS6_NS4_IJS8_iEEELb0EEESE_SG_EEENS4_IJSJ_SL_SK_EEESQ_SR_lEENS3_INS4_IJSA_SG_SG_EEESW_NS4_IJSN_NSI_IJLi3EEEENSI_IJLi4EEEEEEESO_lEENS_16tensor_operation12element_wise11PassThroughES15_S15_Li16ELi128ELi4ELi16ELi16ELi4ELi1ELi2ENSI_IJLi16ELi16ELi1EEEENSI_IJLi1ELi0ELi2EEEES17_Li2ELi4ELi4ELb0ELb1ELi4ELb0ELi4ENSI_IJLi0ELi2ELi4ELi5ELi6ELi1ELi3ELi7EEEELi7ELi1EEEffSS_SX_S12_S15_S15_S15_NS_13TensorAdaptorINS4_IJNSB_IS6_Lb0EEES1B_NS_23Merge_v2_magic_divisionINS4_IJiiiiEEEEEEEENS4_IJSJ_SL_NSI_IJLi2ELi3ELi4ELi5EEEEEEENS4_IJNSI_IJLi2ELi4EEEENSI_IJLi3ELi5EEEENSI_IJLi6EEEEEEENSI_IJLi0ELi1EEEES1K_EELb1EEEvPKT0_S1Q_PT1_T2_T3_T4_T5_T6_T7_T8_: ; @_ZN2ck32kernel_gemm_xdlops_skip_b_lds_v1INS_48GridwiseGemm_k0mk1_k0nk1_mn_xdlops_skip_b_lds_v1ILi256EfffLNS_25InMemoryDataOperationEnumE0ENS_16TensorDescriptorINS_5TupleIJNS_5EmbedINS4_IJiiEEENS4_IJiNS_17integral_constantIiLi1EEEEEELb0EEENS_7UnMergeINS4_IJiNS7_IiLi4EEEEEELb0EEENS_11PassThroughIiEEEEENS4_IJNS_8SequenceIJLi0EEEENSI_IJLi2EEEENSI_IJLi1EEEEEEENS4_IJNSI_IJLi1ELi2EEEENSI_IJLi3ELi4EEEENSI_IJLi5EEEEEEENSI_IJLi3ELi5ELi4EEEElEENS3_INS4_IJNS5_IS6_NS4_IJS8_iEEELb0EEESE_SG_EEENS4_IJSJ_SL_SK_EEESQ_SR_lEENS3_INS4_IJSA_SG_SG_EEESW_NS4_IJSN_NSI_IJLi3EEEENSI_IJLi4EEEEEEESO_lEENS_16tensor_operation12element_wise11PassThroughES15_S15_Li16ELi128ELi4ELi16ELi16ELi4ELi1ELi2ENSI_IJLi16ELi16ELi1EEEENSI_IJLi1ELi0ELi2EEEES17_Li2ELi4ELi4ELb0ELb1ELi4ELb0ELi4ENSI_IJLi0ELi2ELi4ELi5ELi6ELi1ELi3ELi7EEEELi7ELi1EEEffSS_SX_S12_S15_S15_S15_NS_13TensorAdaptorINS4_IJNSB_IS6_Lb0EEES1B_NS_23Merge_v2_magic_divisionINS4_IJiiiiEEEEEEEENS4_IJSJ_SL_NSI_IJLi2ELi3ELi4ELi5EEEEEEENS4_IJNSI_IJLi2ELi4EEEENSI_IJLi3ELi5EEEENSI_IJLi6EEEEEEENSI_IJLi0ELi1EEEES1K_EELb1EEEvPKT0_S1Q_PT1_T2_T3_T4_T5_T6_T7_T8_
; %bb.0:
	s_endpgm
	.section	.rodata,"a",@progbits
	.p2align	6, 0x0
	.amdhsa_kernel _ZN2ck32kernel_gemm_xdlops_skip_b_lds_v1INS_48GridwiseGemm_k0mk1_k0nk1_mn_xdlops_skip_b_lds_v1ILi256EfffLNS_25InMemoryDataOperationEnumE0ENS_16TensorDescriptorINS_5TupleIJNS_5EmbedINS4_IJiiEEENS4_IJiNS_17integral_constantIiLi1EEEEEELb0EEENS_7UnMergeINS4_IJiNS7_IiLi4EEEEEELb0EEENS_11PassThroughIiEEEEENS4_IJNS_8SequenceIJLi0EEEENSI_IJLi2EEEENSI_IJLi1EEEEEEENS4_IJNSI_IJLi1ELi2EEEENSI_IJLi3ELi4EEEENSI_IJLi5EEEEEEENSI_IJLi3ELi5ELi4EEEElEENS3_INS4_IJNS5_IS6_NS4_IJS8_iEEELb0EEESE_SG_EEENS4_IJSJ_SL_SK_EEESQ_SR_lEENS3_INS4_IJSA_SG_SG_EEESW_NS4_IJSN_NSI_IJLi3EEEENSI_IJLi4EEEEEEESO_lEENS_16tensor_operation12element_wise11PassThroughES15_S15_Li16ELi128ELi4ELi16ELi16ELi4ELi1ELi2ENSI_IJLi16ELi16ELi1EEEENSI_IJLi1ELi0ELi2EEEES17_Li2ELi4ELi4ELb0ELb1ELi4ELb0ELi4ENSI_IJLi0ELi2ELi4ELi5ELi6ELi1ELi3ELi7EEEELi7ELi1EEEffSS_SX_S12_S15_S15_S15_NS_13TensorAdaptorINS4_IJNSB_IS6_Lb0EEES1B_NS_23Merge_v2_magic_divisionINS4_IJiiiiEEEEEEEENS4_IJSJ_SL_NSI_IJLi2ELi3ELi4ELi5EEEEEEENS4_IJNSI_IJLi2ELi4EEEENSI_IJLi3ELi5EEEENSI_IJLi6EEEEEEENSI_IJLi0ELi1EEEES1K_EELb1EEEvPKT0_S1Q_PT1_T2_T3_T4_T5_T6_T7_T8_
		.amdhsa_group_segment_fixed_size 0
		.amdhsa_private_segment_fixed_size 0
		.amdhsa_kernarg_size 252
		.amdhsa_user_sgpr_count 2
		.amdhsa_user_sgpr_dispatch_ptr 0
		.amdhsa_user_sgpr_queue_ptr 0
		.amdhsa_user_sgpr_kernarg_segment_ptr 1
		.amdhsa_user_sgpr_dispatch_id 0
		.amdhsa_user_sgpr_private_segment_size 0
		.amdhsa_wavefront_size32 1
		.amdhsa_uses_dynamic_stack 0
		.amdhsa_enable_private_segment 0
		.amdhsa_system_sgpr_workgroup_id_x 1
		.amdhsa_system_sgpr_workgroup_id_y 0
		.amdhsa_system_sgpr_workgroup_id_z 0
		.amdhsa_system_sgpr_workgroup_info 0
		.amdhsa_system_vgpr_workitem_id 0
		.amdhsa_next_free_vgpr 1
		.amdhsa_next_free_sgpr 1
		.amdhsa_reserve_vcc 0
		.amdhsa_float_round_mode_32 0
		.amdhsa_float_round_mode_16_64 0
		.amdhsa_float_denorm_mode_32 3
		.amdhsa_float_denorm_mode_16_64 3
		.amdhsa_fp16_overflow 0
		.amdhsa_workgroup_processor_mode 1
		.amdhsa_memory_ordered 1
		.amdhsa_forward_progress 1
		.amdhsa_inst_pref_size 1
		.amdhsa_round_robin_scheduling 0
		.amdhsa_exception_fp_ieee_invalid_op 0
		.amdhsa_exception_fp_denorm_src 0
		.amdhsa_exception_fp_ieee_div_zero 0
		.amdhsa_exception_fp_ieee_overflow 0
		.amdhsa_exception_fp_ieee_underflow 0
		.amdhsa_exception_fp_ieee_inexact 0
		.amdhsa_exception_int_div_zero 0
	.end_amdhsa_kernel
	.section	.text._ZN2ck32kernel_gemm_xdlops_skip_b_lds_v1INS_48GridwiseGemm_k0mk1_k0nk1_mn_xdlops_skip_b_lds_v1ILi256EfffLNS_25InMemoryDataOperationEnumE0ENS_16TensorDescriptorINS_5TupleIJNS_5EmbedINS4_IJiiEEENS4_IJiNS_17integral_constantIiLi1EEEEEELb0EEENS_7UnMergeINS4_IJiNS7_IiLi4EEEEEELb0EEENS_11PassThroughIiEEEEENS4_IJNS_8SequenceIJLi0EEEENSI_IJLi2EEEENSI_IJLi1EEEEEEENS4_IJNSI_IJLi1ELi2EEEENSI_IJLi3ELi4EEEENSI_IJLi5EEEEEEENSI_IJLi3ELi5ELi4EEEElEENS3_INS4_IJNS5_IS6_NS4_IJS8_iEEELb0EEESE_SG_EEENS4_IJSJ_SL_SK_EEESQ_SR_lEENS3_INS4_IJSA_SG_SG_EEESW_NS4_IJSN_NSI_IJLi3EEEENSI_IJLi4EEEEEEESO_lEENS_16tensor_operation12element_wise11PassThroughES15_S15_Li16ELi128ELi4ELi16ELi16ELi4ELi1ELi2ENSI_IJLi16ELi16ELi1EEEENSI_IJLi1ELi0ELi2EEEES17_Li2ELi4ELi4ELb0ELb1ELi4ELb0ELi4ENSI_IJLi0ELi2ELi4ELi5ELi6ELi1ELi3ELi7EEEELi7ELi1EEEffSS_SX_S12_S15_S15_S15_NS_13TensorAdaptorINS4_IJNSB_IS6_Lb0EEES1B_NS_23Merge_v2_magic_divisionINS4_IJiiiiEEEEEEEENS4_IJSJ_SL_NSI_IJLi2ELi3ELi4ELi5EEEEEEENS4_IJNSI_IJLi2ELi4EEEENSI_IJLi3ELi5EEEENSI_IJLi6EEEEEEENSI_IJLi0ELi1EEEES1K_EELb1EEEvPKT0_S1Q_PT1_T2_T3_T4_T5_T6_T7_T8_,"axG",@progbits,_ZN2ck32kernel_gemm_xdlops_skip_b_lds_v1INS_48GridwiseGemm_k0mk1_k0nk1_mn_xdlops_skip_b_lds_v1ILi256EfffLNS_25InMemoryDataOperationEnumE0ENS_16TensorDescriptorINS_5TupleIJNS_5EmbedINS4_IJiiEEENS4_IJiNS_17integral_constantIiLi1EEEEEELb0EEENS_7UnMergeINS4_IJiNS7_IiLi4EEEEEELb0EEENS_11PassThroughIiEEEEENS4_IJNS_8SequenceIJLi0EEEENSI_IJLi2EEEENSI_IJLi1EEEEEEENS4_IJNSI_IJLi1ELi2EEEENSI_IJLi3ELi4EEEENSI_IJLi5EEEEEEENSI_IJLi3ELi5ELi4EEEElEENS3_INS4_IJNS5_IS6_NS4_IJS8_iEEELb0EEESE_SG_EEENS4_IJSJ_SL_SK_EEESQ_SR_lEENS3_INS4_IJSA_SG_SG_EEESW_NS4_IJSN_NSI_IJLi3EEEENSI_IJLi4EEEEEEESO_lEENS_16tensor_operation12element_wise11PassThroughES15_S15_Li16ELi128ELi4ELi16ELi16ELi4ELi1ELi2ENSI_IJLi16ELi16ELi1EEEENSI_IJLi1ELi0ELi2EEEES17_Li2ELi4ELi4ELb0ELb1ELi4ELb0ELi4ENSI_IJLi0ELi2ELi4ELi5ELi6ELi1ELi3ELi7EEEELi7ELi1EEEffSS_SX_S12_S15_S15_S15_NS_13TensorAdaptorINS4_IJNSB_IS6_Lb0EEES1B_NS_23Merge_v2_magic_divisionINS4_IJiiiiEEEEEEEENS4_IJSJ_SL_NSI_IJLi2ELi3ELi4ELi5EEEEEEENS4_IJNSI_IJLi2ELi4EEEENSI_IJLi3ELi5EEEENSI_IJLi6EEEEEEENSI_IJLi0ELi1EEEES1K_EELb1EEEvPKT0_S1Q_PT1_T2_T3_T4_T5_T6_T7_T8_,comdat
.Lfunc_end1:
	.size	_ZN2ck32kernel_gemm_xdlops_skip_b_lds_v1INS_48GridwiseGemm_k0mk1_k0nk1_mn_xdlops_skip_b_lds_v1ILi256EfffLNS_25InMemoryDataOperationEnumE0ENS_16TensorDescriptorINS_5TupleIJNS_5EmbedINS4_IJiiEEENS4_IJiNS_17integral_constantIiLi1EEEEEELb0EEENS_7UnMergeINS4_IJiNS7_IiLi4EEEEEELb0EEENS_11PassThroughIiEEEEENS4_IJNS_8SequenceIJLi0EEEENSI_IJLi2EEEENSI_IJLi1EEEEEEENS4_IJNSI_IJLi1ELi2EEEENSI_IJLi3ELi4EEEENSI_IJLi5EEEEEEENSI_IJLi3ELi5ELi4EEEElEENS3_INS4_IJNS5_IS6_NS4_IJS8_iEEELb0EEESE_SG_EEENS4_IJSJ_SL_SK_EEESQ_SR_lEENS3_INS4_IJSA_SG_SG_EEESW_NS4_IJSN_NSI_IJLi3EEEENSI_IJLi4EEEEEEESO_lEENS_16tensor_operation12element_wise11PassThroughES15_S15_Li16ELi128ELi4ELi16ELi16ELi4ELi1ELi2ENSI_IJLi16ELi16ELi1EEEENSI_IJLi1ELi0ELi2EEEES17_Li2ELi4ELi4ELb0ELb1ELi4ELb0ELi4ENSI_IJLi0ELi2ELi4ELi5ELi6ELi1ELi3ELi7EEEELi7ELi1EEEffSS_SX_S12_S15_S15_S15_NS_13TensorAdaptorINS4_IJNSB_IS6_Lb0EEES1B_NS_23Merge_v2_magic_divisionINS4_IJiiiiEEEEEEEENS4_IJSJ_SL_NSI_IJLi2ELi3ELi4ELi5EEEEEEENS4_IJNSI_IJLi2ELi4EEEENSI_IJLi3ELi5EEEENSI_IJLi6EEEEEEENSI_IJLi0ELi1EEEES1K_EELb1EEEvPKT0_S1Q_PT1_T2_T3_T4_T5_T6_T7_T8_, .Lfunc_end1-_ZN2ck32kernel_gemm_xdlops_skip_b_lds_v1INS_48GridwiseGemm_k0mk1_k0nk1_mn_xdlops_skip_b_lds_v1ILi256EfffLNS_25InMemoryDataOperationEnumE0ENS_16TensorDescriptorINS_5TupleIJNS_5EmbedINS4_IJiiEEENS4_IJiNS_17integral_constantIiLi1EEEEEELb0EEENS_7UnMergeINS4_IJiNS7_IiLi4EEEEEELb0EEENS_11PassThroughIiEEEEENS4_IJNS_8SequenceIJLi0EEEENSI_IJLi2EEEENSI_IJLi1EEEEEEENS4_IJNSI_IJLi1ELi2EEEENSI_IJLi3ELi4EEEENSI_IJLi5EEEEEEENSI_IJLi3ELi5ELi4EEEElEENS3_INS4_IJNS5_IS6_NS4_IJS8_iEEELb0EEESE_SG_EEENS4_IJSJ_SL_SK_EEESQ_SR_lEENS3_INS4_IJSA_SG_SG_EEESW_NS4_IJSN_NSI_IJLi3EEEENSI_IJLi4EEEEEEESO_lEENS_16tensor_operation12element_wise11PassThroughES15_S15_Li16ELi128ELi4ELi16ELi16ELi4ELi1ELi2ENSI_IJLi16ELi16ELi1EEEENSI_IJLi1ELi0ELi2EEEES17_Li2ELi4ELi4ELb0ELb1ELi4ELb0ELi4ENSI_IJLi0ELi2ELi4ELi5ELi6ELi1ELi3ELi7EEEELi7ELi1EEEffSS_SX_S12_S15_S15_S15_NS_13TensorAdaptorINS4_IJNSB_IS6_Lb0EEES1B_NS_23Merge_v2_magic_divisionINS4_IJiiiiEEEEEEEENS4_IJSJ_SL_NSI_IJLi2ELi3ELi4ELi5EEEEEEENS4_IJNSI_IJLi2ELi4EEEENSI_IJLi3ELi5EEEENSI_IJLi6EEEEEEENSI_IJLi0ELi1EEEES1K_EELb1EEEvPKT0_S1Q_PT1_T2_T3_T4_T5_T6_T7_T8_
                                        ; -- End function
	.set _ZN2ck32kernel_gemm_xdlops_skip_b_lds_v1INS_48GridwiseGemm_k0mk1_k0nk1_mn_xdlops_skip_b_lds_v1ILi256EfffLNS_25InMemoryDataOperationEnumE0ENS_16TensorDescriptorINS_5TupleIJNS_5EmbedINS4_IJiiEEENS4_IJiNS_17integral_constantIiLi1EEEEEELb0EEENS_7UnMergeINS4_IJiNS7_IiLi4EEEEEELb0EEENS_11PassThroughIiEEEEENS4_IJNS_8SequenceIJLi0EEEENSI_IJLi2EEEENSI_IJLi1EEEEEEENS4_IJNSI_IJLi1ELi2EEEENSI_IJLi3ELi4EEEENSI_IJLi5EEEEEEENSI_IJLi3ELi5ELi4EEEElEENS3_INS4_IJNS5_IS6_NS4_IJS8_iEEELb0EEESE_SG_EEENS4_IJSJ_SL_SK_EEESQ_SR_lEENS3_INS4_IJSA_SG_SG_EEESW_NS4_IJSN_NSI_IJLi3EEEENSI_IJLi4EEEEEEESO_lEENS_16tensor_operation12element_wise11PassThroughES15_S15_Li16ELi128ELi4ELi16ELi16ELi4ELi1ELi2ENSI_IJLi16ELi16ELi1EEEENSI_IJLi1ELi0ELi2EEEES17_Li2ELi4ELi4ELb0ELb1ELi4ELb0ELi4ENSI_IJLi0ELi2ELi4ELi5ELi6ELi1ELi3ELi7EEEELi7ELi1EEEffSS_SX_S12_S15_S15_S15_NS_13TensorAdaptorINS4_IJNSB_IS6_Lb0EEES1B_NS_23Merge_v2_magic_divisionINS4_IJiiiiEEEEEEEENS4_IJSJ_SL_NSI_IJLi2ELi3ELi4ELi5EEEEEEENS4_IJNSI_IJLi2ELi4EEEENSI_IJLi3ELi5EEEENSI_IJLi6EEEEEEENSI_IJLi0ELi1EEEES1K_EELb1EEEvPKT0_S1Q_PT1_T2_T3_T4_T5_T6_T7_T8_.num_vgpr, 0
	.set _ZN2ck32kernel_gemm_xdlops_skip_b_lds_v1INS_48GridwiseGemm_k0mk1_k0nk1_mn_xdlops_skip_b_lds_v1ILi256EfffLNS_25InMemoryDataOperationEnumE0ENS_16TensorDescriptorINS_5TupleIJNS_5EmbedINS4_IJiiEEENS4_IJiNS_17integral_constantIiLi1EEEEEELb0EEENS_7UnMergeINS4_IJiNS7_IiLi4EEEEEELb0EEENS_11PassThroughIiEEEEENS4_IJNS_8SequenceIJLi0EEEENSI_IJLi2EEEENSI_IJLi1EEEEEEENS4_IJNSI_IJLi1ELi2EEEENSI_IJLi3ELi4EEEENSI_IJLi5EEEEEEENSI_IJLi3ELi5ELi4EEEElEENS3_INS4_IJNS5_IS6_NS4_IJS8_iEEELb0EEESE_SG_EEENS4_IJSJ_SL_SK_EEESQ_SR_lEENS3_INS4_IJSA_SG_SG_EEESW_NS4_IJSN_NSI_IJLi3EEEENSI_IJLi4EEEEEEESO_lEENS_16tensor_operation12element_wise11PassThroughES15_S15_Li16ELi128ELi4ELi16ELi16ELi4ELi1ELi2ENSI_IJLi16ELi16ELi1EEEENSI_IJLi1ELi0ELi2EEEES17_Li2ELi4ELi4ELb0ELb1ELi4ELb0ELi4ENSI_IJLi0ELi2ELi4ELi5ELi6ELi1ELi3ELi7EEEELi7ELi1EEEffSS_SX_S12_S15_S15_S15_NS_13TensorAdaptorINS4_IJNSB_IS6_Lb0EEES1B_NS_23Merge_v2_magic_divisionINS4_IJiiiiEEEEEEEENS4_IJSJ_SL_NSI_IJLi2ELi3ELi4ELi5EEEEEEENS4_IJNSI_IJLi2ELi4EEEENSI_IJLi3ELi5EEEENSI_IJLi6EEEEEEENSI_IJLi0ELi1EEEES1K_EELb1EEEvPKT0_S1Q_PT1_T2_T3_T4_T5_T6_T7_T8_.num_agpr, 0
	.set _ZN2ck32kernel_gemm_xdlops_skip_b_lds_v1INS_48GridwiseGemm_k0mk1_k0nk1_mn_xdlops_skip_b_lds_v1ILi256EfffLNS_25InMemoryDataOperationEnumE0ENS_16TensorDescriptorINS_5TupleIJNS_5EmbedINS4_IJiiEEENS4_IJiNS_17integral_constantIiLi1EEEEEELb0EEENS_7UnMergeINS4_IJiNS7_IiLi4EEEEEELb0EEENS_11PassThroughIiEEEEENS4_IJNS_8SequenceIJLi0EEEENSI_IJLi2EEEENSI_IJLi1EEEEEEENS4_IJNSI_IJLi1ELi2EEEENSI_IJLi3ELi4EEEENSI_IJLi5EEEEEEENSI_IJLi3ELi5ELi4EEEElEENS3_INS4_IJNS5_IS6_NS4_IJS8_iEEELb0EEESE_SG_EEENS4_IJSJ_SL_SK_EEESQ_SR_lEENS3_INS4_IJSA_SG_SG_EEESW_NS4_IJSN_NSI_IJLi3EEEENSI_IJLi4EEEEEEESO_lEENS_16tensor_operation12element_wise11PassThroughES15_S15_Li16ELi128ELi4ELi16ELi16ELi4ELi1ELi2ENSI_IJLi16ELi16ELi1EEEENSI_IJLi1ELi0ELi2EEEES17_Li2ELi4ELi4ELb0ELb1ELi4ELb0ELi4ENSI_IJLi0ELi2ELi4ELi5ELi6ELi1ELi3ELi7EEEELi7ELi1EEEffSS_SX_S12_S15_S15_S15_NS_13TensorAdaptorINS4_IJNSB_IS6_Lb0EEES1B_NS_23Merge_v2_magic_divisionINS4_IJiiiiEEEEEEEENS4_IJSJ_SL_NSI_IJLi2ELi3ELi4ELi5EEEEEEENS4_IJNSI_IJLi2ELi4EEEENSI_IJLi3ELi5EEEENSI_IJLi6EEEEEEENSI_IJLi0ELi1EEEES1K_EELb1EEEvPKT0_S1Q_PT1_T2_T3_T4_T5_T6_T7_T8_.numbered_sgpr, 0
	.set _ZN2ck32kernel_gemm_xdlops_skip_b_lds_v1INS_48GridwiseGemm_k0mk1_k0nk1_mn_xdlops_skip_b_lds_v1ILi256EfffLNS_25InMemoryDataOperationEnumE0ENS_16TensorDescriptorINS_5TupleIJNS_5EmbedINS4_IJiiEEENS4_IJiNS_17integral_constantIiLi1EEEEEELb0EEENS_7UnMergeINS4_IJiNS7_IiLi4EEEEEELb0EEENS_11PassThroughIiEEEEENS4_IJNS_8SequenceIJLi0EEEENSI_IJLi2EEEENSI_IJLi1EEEEEEENS4_IJNSI_IJLi1ELi2EEEENSI_IJLi3ELi4EEEENSI_IJLi5EEEEEEENSI_IJLi3ELi5ELi4EEEElEENS3_INS4_IJNS5_IS6_NS4_IJS8_iEEELb0EEESE_SG_EEENS4_IJSJ_SL_SK_EEESQ_SR_lEENS3_INS4_IJSA_SG_SG_EEESW_NS4_IJSN_NSI_IJLi3EEEENSI_IJLi4EEEEEEESO_lEENS_16tensor_operation12element_wise11PassThroughES15_S15_Li16ELi128ELi4ELi16ELi16ELi4ELi1ELi2ENSI_IJLi16ELi16ELi1EEEENSI_IJLi1ELi0ELi2EEEES17_Li2ELi4ELi4ELb0ELb1ELi4ELb0ELi4ENSI_IJLi0ELi2ELi4ELi5ELi6ELi1ELi3ELi7EEEELi7ELi1EEEffSS_SX_S12_S15_S15_S15_NS_13TensorAdaptorINS4_IJNSB_IS6_Lb0EEES1B_NS_23Merge_v2_magic_divisionINS4_IJiiiiEEEEEEEENS4_IJSJ_SL_NSI_IJLi2ELi3ELi4ELi5EEEEEEENS4_IJNSI_IJLi2ELi4EEEENSI_IJLi3ELi5EEEENSI_IJLi6EEEEEEENSI_IJLi0ELi1EEEES1K_EELb1EEEvPKT0_S1Q_PT1_T2_T3_T4_T5_T6_T7_T8_.num_named_barrier, 0
	.set _ZN2ck32kernel_gemm_xdlops_skip_b_lds_v1INS_48GridwiseGemm_k0mk1_k0nk1_mn_xdlops_skip_b_lds_v1ILi256EfffLNS_25InMemoryDataOperationEnumE0ENS_16TensorDescriptorINS_5TupleIJNS_5EmbedINS4_IJiiEEENS4_IJiNS_17integral_constantIiLi1EEEEEELb0EEENS_7UnMergeINS4_IJiNS7_IiLi4EEEEEELb0EEENS_11PassThroughIiEEEEENS4_IJNS_8SequenceIJLi0EEEENSI_IJLi2EEEENSI_IJLi1EEEEEEENS4_IJNSI_IJLi1ELi2EEEENSI_IJLi3ELi4EEEENSI_IJLi5EEEEEEENSI_IJLi3ELi5ELi4EEEElEENS3_INS4_IJNS5_IS6_NS4_IJS8_iEEELb0EEESE_SG_EEENS4_IJSJ_SL_SK_EEESQ_SR_lEENS3_INS4_IJSA_SG_SG_EEESW_NS4_IJSN_NSI_IJLi3EEEENSI_IJLi4EEEEEEESO_lEENS_16tensor_operation12element_wise11PassThroughES15_S15_Li16ELi128ELi4ELi16ELi16ELi4ELi1ELi2ENSI_IJLi16ELi16ELi1EEEENSI_IJLi1ELi0ELi2EEEES17_Li2ELi4ELi4ELb0ELb1ELi4ELb0ELi4ENSI_IJLi0ELi2ELi4ELi5ELi6ELi1ELi3ELi7EEEELi7ELi1EEEffSS_SX_S12_S15_S15_S15_NS_13TensorAdaptorINS4_IJNSB_IS6_Lb0EEES1B_NS_23Merge_v2_magic_divisionINS4_IJiiiiEEEEEEEENS4_IJSJ_SL_NSI_IJLi2ELi3ELi4ELi5EEEEEEENS4_IJNSI_IJLi2ELi4EEEENSI_IJLi3ELi5EEEENSI_IJLi6EEEEEEENSI_IJLi0ELi1EEEES1K_EELb1EEEvPKT0_S1Q_PT1_T2_T3_T4_T5_T6_T7_T8_.private_seg_size, 0
	.set _ZN2ck32kernel_gemm_xdlops_skip_b_lds_v1INS_48GridwiseGemm_k0mk1_k0nk1_mn_xdlops_skip_b_lds_v1ILi256EfffLNS_25InMemoryDataOperationEnumE0ENS_16TensorDescriptorINS_5TupleIJNS_5EmbedINS4_IJiiEEENS4_IJiNS_17integral_constantIiLi1EEEEEELb0EEENS_7UnMergeINS4_IJiNS7_IiLi4EEEEEELb0EEENS_11PassThroughIiEEEEENS4_IJNS_8SequenceIJLi0EEEENSI_IJLi2EEEENSI_IJLi1EEEEEEENS4_IJNSI_IJLi1ELi2EEEENSI_IJLi3ELi4EEEENSI_IJLi5EEEEEEENSI_IJLi3ELi5ELi4EEEElEENS3_INS4_IJNS5_IS6_NS4_IJS8_iEEELb0EEESE_SG_EEENS4_IJSJ_SL_SK_EEESQ_SR_lEENS3_INS4_IJSA_SG_SG_EEESW_NS4_IJSN_NSI_IJLi3EEEENSI_IJLi4EEEEEEESO_lEENS_16tensor_operation12element_wise11PassThroughES15_S15_Li16ELi128ELi4ELi16ELi16ELi4ELi1ELi2ENSI_IJLi16ELi16ELi1EEEENSI_IJLi1ELi0ELi2EEEES17_Li2ELi4ELi4ELb0ELb1ELi4ELb0ELi4ENSI_IJLi0ELi2ELi4ELi5ELi6ELi1ELi3ELi7EEEELi7ELi1EEEffSS_SX_S12_S15_S15_S15_NS_13TensorAdaptorINS4_IJNSB_IS6_Lb0EEES1B_NS_23Merge_v2_magic_divisionINS4_IJiiiiEEEEEEEENS4_IJSJ_SL_NSI_IJLi2ELi3ELi4ELi5EEEEEEENS4_IJNSI_IJLi2ELi4EEEENSI_IJLi3ELi5EEEENSI_IJLi6EEEEEEENSI_IJLi0ELi1EEEES1K_EELb1EEEvPKT0_S1Q_PT1_T2_T3_T4_T5_T6_T7_T8_.uses_vcc, 0
	.set _ZN2ck32kernel_gemm_xdlops_skip_b_lds_v1INS_48GridwiseGemm_k0mk1_k0nk1_mn_xdlops_skip_b_lds_v1ILi256EfffLNS_25InMemoryDataOperationEnumE0ENS_16TensorDescriptorINS_5TupleIJNS_5EmbedINS4_IJiiEEENS4_IJiNS_17integral_constantIiLi1EEEEEELb0EEENS_7UnMergeINS4_IJiNS7_IiLi4EEEEEELb0EEENS_11PassThroughIiEEEEENS4_IJNS_8SequenceIJLi0EEEENSI_IJLi2EEEENSI_IJLi1EEEEEEENS4_IJNSI_IJLi1ELi2EEEENSI_IJLi3ELi4EEEENSI_IJLi5EEEEEEENSI_IJLi3ELi5ELi4EEEElEENS3_INS4_IJNS5_IS6_NS4_IJS8_iEEELb0EEESE_SG_EEENS4_IJSJ_SL_SK_EEESQ_SR_lEENS3_INS4_IJSA_SG_SG_EEESW_NS4_IJSN_NSI_IJLi3EEEENSI_IJLi4EEEEEEESO_lEENS_16tensor_operation12element_wise11PassThroughES15_S15_Li16ELi128ELi4ELi16ELi16ELi4ELi1ELi2ENSI_IJLi16ELi16ELi1EEEENSI_IJLi1ELi0ELi2EEEES17_Li2ELi4ELi4ELb0ELb1ELi4ELb0ELi4ENSI_IJLi0ELi2ELi4ELi5ELi6ELi1ELi3ELi7EEEELi7ELi1EEEffSS_SX_S12_S15_S15_S15_NS_13TensorAdaptorINS4_IJNSB_IS6_Lb0EEES1B_NS_23Merge_v2_magic_divisionINS4_IJiiiiEEEEEEEENS4_IJSJ_SL_NSI_IJLi2ELi3ELi4ELi5EEEEEEENS4_IJNSI_IJLi2ELi4EEEENSI_IJLi3ELi5EEEENSI_IJLi6EEEEEEENSI_IJLi0ELi1EEEES1K_EELb1EEEvPKT0_S1Q_PT1_T2_T3_T4_T5_T6_T7_T8_.uses_flat_scratch, 0
	.set _ZN2ck32kernel_gemm_xdlops_skip_b_lds_v1INS_48GridwiseGemm_k0mk1_k0nk1_mn_xdlops_skip_b_lds_v1ILi256EfffLNS_25InMemoryDataOperationEnumE0ENS_16TensorDescriptorINS_5TupleIJNS_5EmbedINS4_IJiiEEENS4_IJiNS_17integral_constantIiLi1EEEEEELb0EEENS_7UnMergeINS4_IJiNS7_IiLi4EEEEEELb0EEENS_11PassThroughIiEEEEENS4_IJNS_8SequenceIJLi0EEEENSI_IJLi2EEEENSI_IJLi1EEEEEEENS4_IJNSI_IJLi1ELi2EEEENSI_IJLi3ELi4EEEENSI_IJLi5EEEEEEENSI_IJLi3ELi5ELi4EEEElEENS3_INS4_IJNS5_IS6_NS4_IJS8_iEEELb0EEESE_SG_EEENS4_IJSJ_SL_SK_EEESQ_SR_lEENS3_INS4_IJSA_SG_SG_EEESW_NS4_IJSN_NSI_IJLi3EEEENSI_IJLi4EEEEEEESO_lEENS_16tensor_operation12element_wise11PassThroughES15_S15_Li16ELi128ELi4ELi16ELi16ELi4ELi1ELi2ENSI_IJLi16ELi16ELi1EEEENSI_IJLi1ELi0ELi2EEEES17_Li2ELi4ELi4ELb0ELb1ELi4ELb0ELi4ENSI_IJLi0ELi2ELi4ELi5ELi6ELi1ELi3ELi7EEEELi7ELi1EEEffSS_SX_S12_S15_S15_S15_NS_13TensorAdaptorINS4_IJNSB_IS6_Lb0EEES1B_NS_23Merge_v2_magic_divisionINS4_IJiiiiEEEEEEEENS4_IJSJ_SL_NSI_IJLi2ELi3ELi4ELi5EEEEEEENS4_IJNSI_IJLi2ELi4EEEENSI_IJLi3ELi5EEEENSI_IJLi6EEEEEEENSI_IJLi0ELi1EEEES1K_EELb1EEEvPKT0_S1Q_PT1_T2_T3_T4_T5_T6_T7_T8_.has_dyn_sized_stack, 0
	.set _ZN2ck32kernel_gemm_xdlops_skip_b_lds_v1INS_48GridwiseGemm_k0mk1_k0nk1_mn_xdlops_skip_b_lds_v1ILi256EfffLNS_25InMemoryDataOperationEnumE0ENS_16TensorDescriptorINS_5TupleIJNS_5EmbedINS4_IJiiEEENS4_IJiNS_17integral_constantIiLi1EEEEEELb0EEENS_7UnMergeINS4_IJiNS7_IiLi4EEEEEELb0EEENS_11PassThroughIiEEEEENS4_IJNS_8SequenceIJLi0EEEENSI_IJLi2EEEENSI_IJLi1EEEEEEENS4_IJNSI_IJLi1ELi2EEEENSI_IJLi3ELi4EEEENSI_IJLi5EEEEEEENSI_IJLi3ELi5ELi4EEEElEENS3_INS4_IJNS5_IS6_NS4_IJS8_iEEELb0EEESE_SG_EEENS4_IJSJ_SL_SK_EEESQ_SR_lEENS3_INS4_IJSA_SG_SG_EEESW_NS4_IJSN_NSI_IJLi3EEEENSI_IJLi4EEEEEEESO_lEENS_16tensor_operation12element_wise11PassThroughES15_S15_Li16ELi128ELi4ELi16ELi16ELi4ELi1ELi2ENSI_IJLi16ELi16ELi1EEEENSI_IJLi1ELi0ELi2EEEES17_Li2ELi4ELi4ELb0ELb1ELi4ELb0ELi4ENSI_IJLi0ELi2ELi4ELi5ELi6ELi1ELi3ELi7EEEELi7ELi1EEEffSS_SX_S12_S15_S15_S15_NS_13TensorAdaptorINS4_IJNSB_IS6_Lb0EEES1B_NS_23Merge_v2_magic_divisionINS4_IJiiiiEEEEEEEENS4_IJSJ_SL_NSI_IJLi2ELi3ELi4ELi5EEEEEEENS4_IJNSI_IJLi2ELi4EEEENSI_IJLi3ELi5EEEENSI_IJLi6EEEEEEENSI_IJLi0ELi1EEEES1K_EELb1EEEvPKT0_S1Q_PT1_T2_T3_T4_T5_T6_T7_T8_.has_recursion, 0
	.set _ZN2ck32kernel_gemm_xdlops_skip_b_lds_v1INS_48GridwiseGemm_k0mk1_k0nk1_mn_xdlops_skip_b_lds_v1ILi256EfffLNS_25InMemoryDataOperationEnumE0ENS_16TensorDescriptorINS_5TupleIJNS_5EmbedINS4_IJiiEEENS4_IJiNS_17integral_constantIiLi1EEEEEELb0EEENS_7UnMergeINS4_IJiNS7_IiLi4EEEEEELb0EEENS_11PassThroughIiEEEEENS4_IJNS_8SequenceIJLi0EEEENSI_IJLi2EEEENSI_IJLi1EEEEEEENS4_IJNSI_IJLi1ELi2EEEENSI_IJLi3ELi4EEEENSI_IJLi5EEEEEEENSI_IJLi3ELi5ELi4EEEElEENS3_INS4_IJNS5_IS6_NS4_IJS8_iEEELb0EEESE_SG_EEENS4_IJSJ_SL_SK_EEESQ_SR_lEENS3_INS4_IJSA_SG_SG_EEESW_NS4_IJSN_NSI_IJLi3EEEENSI_IJLi4EEEEEEESO_lEENS_16tensor_operation12element_wise11PassThroughES15_S15_Li16ELi128ELi4ELi16ELi16ELi4ELi1ELi2ENSI_IJLi16ELi16ELi1EEEENSI_IJLi1ELi0ELi2EEEES17_Li2ELi4ELi4ELb0ELb1ELi4ELb0ELi4ENSI_IJLi0ELi2ELi4ELi5ELi6ELi1ELi3ELi7EEEELi7ELi1EEEffSS_SX_S12_S15_S15_S15_NS_13TensorAdaptorINS4_IJNSB_IS6_Lb0EEES1B_NS_23Merge_v2_magic_divisionINS4_IJiiiiEEEEEEEENS4_IJSJ_SL_NSI_IJLi2ELi3ELi4ELi5EEEEEEENS4_IJNSI_IJLi2ELi4EEEENSI_IJLi3ELi5EEEENSI_IJLi6EEEEEEENSI_IJLi0ELi1EEEES1K_EELb1EEEvPKT0_S1Q_PT1_T2_T3_T4_T5_T6_T7_T8_.has_indirect_call, 0
	.section	.AMDGPU.csdata,"",@progbits
; Kernel info:
; codeLenInByte = 4
; TotalNumSgprs: 0
; NumVgprs: 0
; ScratchSize: 0
; MemoryBound: 0
; FloatMode: 240
; IeeeMode: 1
; LDSByteSize: 0 bytes/workgroup (compile time only)
; SGPRBlocks: 0
; VGPRBlocks: 0
; NumSGPRsForWavesPerEU: 1
; NumVGPRsForWavesPerEU: 1
; Occupancy: 16
; WaveLimiterHint : 0
; COMPUTE_PGM_RSRC2:SCRATCH_EN: 0
; COMPUTE_PGM_RSRC2:USER_SGPR: 2
; COMPUTE_PGM_RSRC2:TRAP_HANDLER: 0
; COMPUTE_PGM_RSRC2:TGID_X_EN: 1
; COMPUTE_PGM_RSRC2:TGID_Y_EN: 0
; COMPUTE_PGM_RSRC2:TGID_Z_EN: 0
; COMPUTE_PGM_RSRC2:TIDIG_COMP_CNT: 0
	.section	.text._ZN2ck32kernel_gemm_xdlops_skip_b_lds_v1INS_48GridwiseGemm_k0mk1_k0nk1_mn_xdlops_skip_b_lds_v1ILi256EfffLNS_25InMemoryDataOperationEnumE0ENS_16TensorDescriptorINS_5TupleIJNS_5EmbedINS4_IJiiEEENS4_IJiNS_17integral_constantIiLi1EEEEEELb0EEENS_7UnMergeINS4_IJiNS7_IiLi4EEEEEELb0EEENS_11PassThroughIiEEEEENS4_IJNS_8SequenceIJLi0EEEENSI_IJLi2EEEENSI_IJLi1EEEEEEENS4_IJNSI_IJLi1ELi2EEEENSI_IJLi3ELi4EEEENSI_IJLi5EEEEEEENSI_IJLi3ELi5ELi4EEEElEENS3_INS4_IJNS5_IS6_NS4_IJS8_iEEELb0EEESE_SG_EEENS4_IJSJ_SL_SK_EEESQ_SR_lEENS3_INS4_IJSA_SG_SG_EEESW_NS4_IJSN_NSI_IJLi3EEEENSI_IJLi4EEEEEEESO_lEENS_16tensor_operation12element_wise11PassThroughES15_S15_Li16ELi128ELi4ELi16ELi16ELi4ELi1ELi2ENSI_IJLi16ELi16ELi1EEEENSI_IJLi1ELi0ELi2EEEES17_Li2ELi4ELi4ELb0ELb1ELi4ELb0ELi4ENSI_IJLi0ELi2ELi4ELi5ELi6ELi1ELi3ELi7EEEELi7ELi1EEEffSS_SX_S12_S15_S15_S15_NS_13TensorAdaptorINS4_IJNSB_IS6_Lb0EEES1B_NS_23Merge_v2_magic_divisionINS4_IJiiiiEEEEEEEENS4_IJSJ_SL_NSI_IJLi2ELi3ELi4ELi5EEEEEEENS4_IJNSI_IJLi2ELi4EEEENSI_IJLi3ELi5EEEENSI_IJLi6EEEEEEENSI_IJLi0ELi1EEEES1K_EELb0EEEvPKT0_S1Q_PT1_T2_T3_T4_T5_T6_T7_T8_,"axG",@progbits,_ZN2ck32kernel_gemm_xdlops_skip_b_lds_v1INS_48GridwiseGemm_k0mk1_k0nk1_mn_xdlops_skip_b_lds_v1ILi256EfffLNS_25InMemoryDataOperationEnumE0ENS_16TensorDescriptorINS_5TupleIJNS_5EmbedINS4_IJiiEEENS4_IJiNS_17integral_constantIiLi1EEEEEELb0EEENS_7UnMergeINS4_IJiNS7_IiLi4EEEEEELb0EEENS_11PassThroughIiEEEEENS4_IJNS_8SequenceIJLi0EEEENSI_IJLi2EEEENSI_IJLi1EEEEEEENS4_IJNSI_IJLi1ELi2EEEENSI_IJLi3ELi4EEEENSI_IJLi5EEEEEEENSI_IJLi3ELi5ELi4EEEElEENS3_INS4_IJNS5_IS6_NS4_IJS8_iEEELb0EEESE_SG_EEENS4_IJSJ_SL_SK_EEESQ_SR_lEENS3_INS4_IJSA_SG_SG_EEESW_NS4_IJSN_NSI_IJLi3EEEENSI_IJLi4EEEEEEESO_lEENS_16tensor_operation12element_wise11PassThroughES15_S15_Li16ELi128ELi4ELi16ELi16ELi4ELi1ELi2ENSI_IJLi16ELi16ELi1EEEENSI_IJLi1ELi0ELi2EEEES17_Li2ELi4ELi4ELb0ELb1ELi4ELb0ELi4ENSI_IJLi0ELi2ELi4ELi5ELi6ELi1ELi3ELi7EEEELi7ELi1EEEffSS_SX_S12_S15_S15_S15_NS_13TensorAdaptorINS4_IJNSB_IS6_Lb0EEES1B_NS_23Merge_v2_magic_divisionINS4_IJiiiiEEEEEEEENS4_IJSJ_SL_NSI_IJLi2ELi3ELi4ELi5EEEEEEENS4_IJNSI_IJLi2ELi4EEEENSI_IJLi3ELi5EEEENSI_IJLi6EEEEEEENSI_IJLi0ELi1EEEES1K_EELb0EEEvPKT0_S1Q_PT1_T2_T3_T4_T5_T6_T7_T8_,comdat
	.protected	_ZN2ck32kernel_gemm_xdlops_skip_b_lds_v1INS_48GridwiseGemm_k0mk1_k0nk1_mn_xdlops_skip_b_lds_v1ILi256EfffLNS_25InMemoryDataOperationEnumE0ENS_16TensorDescriptorINS_5TupleIJNS_5EmbedINS4_IJiiEEENS4_IJiNS_17integral_constantIiLi1EEEEEELb0EEENS_7UnMergeINS4_IJiNS7_IiLi4EEEEEELb0EEENS_11PassThroughIiEEEEENS4_IJNS_8SequenceIJLi0EEEENSI_IJLi2EEEENSI_IJLi1EEEEEEENS4_IJNSI_IJLi1ELi2EEEENSI_IJLi3ELi4EEEENSI_IJLi5EEEEEEENSI_IJLi3ELi5ELi4EEEElEENS3_INS4_IJNS5_IS6_NS4_IJS8_iEEELb0EEESE_SG_EEENS4_IJSJ_SL_SK_EEESQ_SR_lEENS3_INS4_IJSA_SG_SG_EEESW_NS4_IJSN_NSI_IJLi3EEEENSI_IJLi4EEEEEEESO_lEENS_16tensor_operation12element_wise11PassThroughES15_S15_Li16ELi128ELi4ELi16ELi16ELi4ELi1ELi2ENSI_IJLi16ELi16ELi1EEEENSI_IJLi1ELi0ELi2EEEES17_Li2ELi4ELi4ELb0ELb1ELi4ELb0ELi4ENSI_IJLi0ELi2ELi4ELi5ELi6ELi1ELi3ELi7EEEELi7ELi1EEEffSS_SX_S12_S15_S15_S15_NS_13TensorAdaptorINS4_IJNSB_IS6_Lb0EEES1B_NS_23Merge_v2_magic_divisionINS4_IJiiiiEEEEEEEENS4_IJSJ_SL_NSI_IJLi2ELi3ELi4ELi5EEEEEEENS4_IJNSI_IJLi2ELi4EEEENSI_IJLi3ELi5EEEENSI_IJLi6EEEEEEENSI_IJLi0ELi1EEEES1K_EELb0EEEvPKT0_S1Q_PT1_T2_T3_T4_T5_T6_T7_T8_ ; -- Begin function _ZN2ck32kernel_gemm_xdlops_skip_b_lds_v1INS_48GridwiseGemm_k0mk1_k0nk1_mn_xdlops_skip_b_lds_v1ILi256EfffLNS_25InMemoryDataOperationEnumE0ENS_16TensorDescriptorINS_5TupleIJNS_5EmbedINS4_IJiiEEENS4_IJiNS_17integral_constantIiLi1EEEEEELb0EEENS_7UnMergeINS4_IJiNS7_IiLi4EEEEEELb0EEENS_11PassThroughIiEEEEENS4_IJNS_8SequenceIJLi0EEEENSI_IJLi2EEEENSI_IJLi1EEEEEEENS4_IJNSI_IJLi1ELi2EEEENSI_IJLi3ELi4EEEENSI_IJLi5EEEEEEENSI_IJLi3ELi5ELi4EEEElEENS3_INS4_IJNS5_IS6_NS4_IJS8_iEEELb0EEESE_SG_EEENS4_IJSJ_SL_SK_EEESQ_SR_lEENS3_INS4_IJSA_SG_SG_EEESW_NS4_IJSN_NSI_IJLi3EEEENSI_IJLi4EEEEEEESO_lEENS_16tensor_operation12element_wise11PassThroughES15_S15_Li16ELi128ELi4ELi16ELi16ELi4ELi1ELi2ENSI_IJLi16ELi16ELi1EEEENSI_IJLi1ELi0ELi2EEEES17_Li2ELi4ELi4ELb0ELb1ELi4ELb0ELi4ENSI_IJLi0ELi2ELi4ELi5ELi6ELi1ELi3ELi7EEEELi7ELi1EEEffSS_SX_S12_S15_S15_S15_NS_13TensorAdaptorINS4_IJNSB_IS6_Lb0EEES1B_NS_23Merge_v2_magic_divisionINS4_IJiiiiEEEEEEEENS4_IJSJ_SL_NSI_IJLi2ELi3ELi4ELi5EEEEEEENS4_IJNSI_IJLi2ELi4EEEENSI_IJLi3ELi5EEEENSI_IJLi6EEEEEEENSI_IJLi0ELi1EEEES1K_EELb0EEEvPKT0_S1Q_PT1_T2_T3_T4_T5_T6_T7_T8_
	.globl	_ZN2ck32kernel_gemm_xdlops_skip_b_lds_v1INS_48GridwiseGemm_k0mk1_k0nk1_mn_xdlops_skip_b_lds_v1ILi256EfffLNS_25InMemoryDataOperationEnumE0ENS_16TensorDescriptorINS_5TupleIJNS_5EmbedINS4_IJiiEEENS4_IJiNS_17integral_constantIiLi1EEEEEELb0EEENS_7UnMergeINS4_IJiNS7_IiLi4EEEEEELb0EEENS_11PassThroughIiEEEEENS4_IJNS_8SequenceIJLi0EEEENSI_IJLi2EEEENSI_IJLi1EEEEEEENS4_IJNSI_IJLi1ELi2EEEENSI_IJLi3ELi4EEEENSI_IJLi5EEEEEEENSI_IJLi3ELi5ELi4EEEElEENS3_INS4_IJNS5_IS6_NS4_IJS8_iEEELb0EEESE_SG_EEENS4_IJSJ_SL_SK_EEESQ_SR_lEENS3_INS4_IJSA_SG_SG_EEESW_NS4_IJSN_NSI_IJLi3EEEENSI_IJLi4EEEEEEESO_lEENS_16tensor_operation12element_wise11PassThroughES15_S15_Li16ELi128ELi4ELi16ELi16ELi4ELi1ELi2ENSI_IJLi16ELi16ELi1EEEENSI_IJLi1ELi0ELi2EEEES17_Li2ELi4ELi4ELb0ELb1ELi4ELb0ELi4ENSI_IJLi0ELi2ELi4ELi5ELi6ELi1ELi3ELi7EEEELi7ELi1EEEffSS_SX_S12_S15_S15_S15_NS_13TensorAdaptorINS4_IJNSB_IS6_Lb0EEES1B_NS_23Merge_v2_magic_divisionINS4_IJiiiiEEEEEEEENS4_IJSJ_SL_NSI_IJLi2ELi3ELi4ELi5EEEEEEENS4_IJNSI_IJLi2ELi4EEEENSI_IJLi3ELi5EEEENSI_IJLi6EEEEEEENSI_IJLi0ELi1EEEES1K_EELb0EEEvPKT0_S1Q_PT1_T2_T3_T4_T5_T6_T7_T8_
	.p2align	8
	.type	_ZN2ck32kernel_gemm_xdlops_skip_b_lds_v1INS_48GridwiseGemm_k0mk1_k0nk1_mn_xdlops_skip_b_lds_v1ILi256EfffLNS_25InMemoryDataOperationEnumE0ENS_16TensorDescriptorINS_5TupleIJNS_5EmbedINS4_IJiiEEENS4_IJiNS_17integral_constantIiLi1EEEEEELb0EEENS_7UnMergeINS4_IJiNS7_IiLi4EEEEEELb0EEENS_11PassThroughIiEEEEENS4_IJNS_8SequenceIJLi0EEEENSI_IJLi2EEEENSI_IJLi1EEEEEEENS4_IJNSI_IJLi1ELi2EEEENSI_IJLi3ELi4EEEENSI_IJLi5EEEEEEENSI_IJLi3ELi5ELi4EEEElEENS3_INS4_IJNS5_IS6_NS4_IJS8_iEEELb0EEESE_SG_EEENS4_IJSJ_SL_SK_EEESQ_SR_lEENS3_INS4_IJSA_SG_SG_EEESW_NS4_IJSN_NSI_IJLi3EEEENSI_IJLi4EEEEEEESO_lEENS_16tensor_operation12element_wise11PassThroughES15_S15_Li16ELi128ELi4ELi16ELi16ELi4ELi1ELi2ENSI_IJLi16ELi16ELi1EEEENSI_IJLi1ELi0ELi2EEEES17_Li2ELi4ELi4ELb0ELb1ELi4ELb0ELi4ENSI_IJLi0ELi2ELi4ELi5ELi6ELi1ELi3ELi7EEEELi7ELi1EEEffSS_SX_S12_S15_S15_S15_NS_13TensorAdaptorINS4_IJNSB_IS6_Lb0EEES1B_NS_23Merge_v2_magic_divisionINS4_IJiiiiEEEEEEEENS4_IJSJ_SL_NSI_IJLi2ELi3ELi4ELi5EEEEEEENS4_IJNSI_IJLi2ELi4EEEENSI_IJLi3ELi5EEEENSI_IJLi6EEEEEEENSI_IJLi0ELi1EEEES1K_EELb0EEEvPKT0_S1Q_PT1_T2_T3_T4_T5_T6_T7_T8_,@function
_ZN2ck32kernel_gemm_xdlops_skip_b_lds_v1INS_48GridwiseGemm_k0mk1_k0nk1_mn_xdlops_skip_b_lds_v1ILi256EfffLNS_25InMemoryDataOperationEnumE0ENS_16TensorDescriptorINS_5TupleIJNS_5EmbedINS4_IJiiEEENS4_IJiNS_17integral_constantIiLi1EEEEEELb0EEENS_7UnMergeINS4_IJiNS7_IiLi4EEEEEELb0EEENS_11PassThroughIiEEEEENS4_IJNS_8SequenceIJLi0EEEENSI_IJLi2EEEENSI_IJLi1EEEEEEENS4_IJNSI_IJLi1ELi2EEEENSI_IJLi3ELi4EEEENSI_IJLi5EEEEEEENSI_IJLi3ELi5ELi4EEEElEENS3_INS4_IJNS5_IS6_NS4_IJS8_iEEELb0EEESE_SG_EEENS4_IJSJ_SL_SK_EEESQ_SR_lEENS3_INS4_IJSA_SG_SG_EEESW_NS4_IJSN_NSI_IJLi3EEEENSI_IJLi4EEEEEEESO_lEENS_16tensor_operation12element_wise11PassThroughES15_S15_Li16ELi128ELi4ELi16ELi16ELi4ELi1ELi2ENSI_IJLi16ELi16ELi1EEEENSI_IJLi1ELi0ELi2EEEES17_Li2ELi4ELi4ELb0ELb1ELi4ELb0ELi4ENSI_IJLi0ELi2ELi4ELi5ELi6ELi1ELi3ELi7EEEELi7ELi1EEEffSS_SX_S12_S15_S15_S15_NS_13TensorAdaptorINS4_IJNSB_IS6_Lb0EEES1B_NS_23Merge_v2_magic_divisionINS4_IJiiiiEEEEEEEENS4_IJSJ_SL_NSI_IJLi2ELi3ELi4ELi5EEEEEEENS4_IJNSI_IJLi2ELi4EEEENSI_IJLi3ELi5EEEENSI_IJLi6EEEEEEENSI_IJLi0ELi1EEEES1K_EELb0EEEvPKT0_S1Q_PT1_T2_T3_T4_T5_T6_T7_T8_: ; @_ZN2ck32kernel_gemm_xdlops_skip_b_lds_v1INS_48GridwiseGemm_k0mk1_k0nk1_mn_xdlops_skip_b_lds_v1ILi256EfffLNS_25InMemoryDataOperationEnumE0ENS_16TensorDescriptorINS_5TupleIJNS_5EmbedINS4_IJiiEEENS4_IJiNS_17integral_constantIiLi1EEEEEELb0EEENS_7UnMergeINS4_IJiNS7_IiLi4EEEEEELb0EEENS_11PassThroughIiEEEEENS4_IJNS_8SequenceIJLi0EEEENSI_IJLi2EEEENSI_IJLi1EEEEEEENS4_IJNSI_IJLi1ELi2EEEENSI_IJLi3ELi4EEEENSI_IJLi5EEEEEEENSI_IJLi3ELi5ELi4EEEElEENS3_INS4_IJNS5_IS6_NS4_IJS8_iEEELb0EEESE_SG_EEENS4_IJSJ_SL_SK_EEESQ_SR_lEENS3_INS4_IJSA_SG_SG_EEESW_NS4_IJSN_NSI_IJLi3EEEENSI_IJLi4EEEEEEESO_lEENS_16tensor_operation12element_wise11PassThroughES15_S15_Li16ELi128ELi4ELi16ELi16ELi4ELi1ELi2ENSI_IJLi16ELi16ELi1EEEENSI_IJLi1ELi0ELi2EEEES17_Li2ELi4ELi4ELb0ELb1ELi4ELb0ELi4ENSI_IJLi0ELi2ELi4ELi5ELi6ELi1ELi3ELi7EEEELi7ELi1EEEffSS_SX_S12_S15_S15_S15_NS_13TensorAdaptorINS4_IJNSB_IS6_Lb0EEES1B_NS_23Merge_v2_magic_divisionINS4_IJiiiiEEEEEEEENS4_IJSJ_SL_NSI_IJLi2ELi3ELi4ELi5EEEEEEENS4_IJNSI_IJLi2ELi4EEEENSI_IJLi3ELi5EEEENSI_IJLi6EEEEEEENSI_IJLi0ELi1EEEES1K_EELb0EEEvPKT0_S1Q_PT1_T2_T3_T4_T5_T6_T7_T8_
; %bb.0:
	s_endpgm
	.section	.rodata,"a",@progbits
	.p2align	6, 0x0
	.amdhsa_kernel _ZN2ck32kernel_gemm_xdlops_skip_b_lds_v1INS_48GridwiseGemm_k0mk1_k0nk1_mn_xdlops_skip_b_lds_v1ILi256EfffLNS_25InMemoryDataOperationEnumE0ENS_16TensorDescriptorINS_5TupleIJNS_5EmbedINS4_IJiiEEENS4_IJiNS_17integral_constantIiLi1EEEEEELb0EEENS_7UnMergeINS4_IJiNS7_IiLi4EEEEEELb0EEENS_11PassThroughIiEEEEENS4_IJNS_8SequenceIJLi0EEEENSI_IJLi2EEEENSI_IJLi1EEEEEEENS4_IJNSI_IJLi1ELi2EEEENSI_IJLi3ELi4EEEENSI_IJLi5EEEEEEENSI_IJLi3ELi5ELi4EEEElEENS3_INS4_IJNS5_IS6_NS4_IJS8_iEEELb0EEESE_SG_EEENS4_IJSJ_SL_SK_EEESQ_SR_lEENS3_INS4_IJSA_SG_SG_EEESW_NS4_IJSN_NSI_IJLi3EEEENSI_IJLi4EEEEEEESO_lEENS_16tensor_operation12element_wise11PassThroughES15_S15_Li16ELi128ELi4ELi16ELi16ELi4ELi1ELi2ENSI_IJLi16ELi16ELi1EEEENSI_IJLi1ELi0ELi2EEEES17_Li2ELi4ELi4ELb0ELb1ELi4ELb0ELi4ENSI_IJLi0ELi2ELi4ELi5ELi6ELi1ELi3ELi7EEEELi7ELi1EEEffSS_SX_S12_S15_S15_S15_NS_13TensorAdaptorINS4_IJNSB_IS6_Lb0EEES1B_NS_23Merge_v2_magic_divisionINS4_IJiiiiEEEEEEEENS4_IJSJ_SL_NSI_IJLi2ELi3ELi4ELi5EEEEEEENS4_IJNSI_IJLi2ELi4EEEENSI_IJLi3ELi5EEEENSI_IJLi6EEEEEEENSI_IJLi0ELi1EEEES1K_EELb0EEEvPKT0_S1Q_PT1_T2_T3_T4_T5_T6_T7_T8_
		.amdhsa_group_segment_fixed_size 0
		.amdhsa_private_segment_fixed_size 0
		.amdhsa_kernarg_size 252
		.amdhsa_user_sgpr_count 2
		.amdhsa_user_sgpr_dispatch_ptr 0
		.amdhsa_user_sgpr_queue_ptr 0
		.amdhsa_user_sgpr_kernarg_segment_ptr 1
		.amdhsa_user_sgpr_dispatch_id 0
		.amdhsa_user_sgpr_private_segment_size 0
		.amdhsa_wavefront_size32 1
		.amdhsa_uses_dynamic_stack 0
		.amdhsa_enable_private_segment 0
		.amdhsa_system_sgpr_workgroup_id_x 1
		.amdhsa_system_sgpr_workgroup_id_y 0
		.amdhsa_system_sgpr_workgroup_id_z 0
		.amdhsa_system_sgpr_workgroup_info 0
		.amdhsa_system_vgpr_workitem_id 0
		.amdhsa_next_free_vgpr 1
		.amdhsa_next_free_sgpr 1
		.amdhsa_reserve_vcc 0
		.amdhsa_float_round_mode_32 0
		.amdhsa_float_round_mode_16_64 0
		.amdhsa_float_denorm_mode_32 3
		.amdhsa_float_denorm_mode_16_64 3
		.amdhsa_fp16_overflow 0
		.amdhsa_workgroup_processor_mode 1
		.amdhsa_memory_ordered 1
		.amdhsa_forward_progress 1
		.amdhsa_inst_pref_size 1
		.amdhsa_round_robin_scheduling 0
		.amdhsa_exception_fp_ieee_invalid_op 0
		.amdhsa_exception_fp_denorm_src 0
		.amdhsa_exception_fp_ieee_div_zero 0
		.amdhsa_exception_fp_ieee_overflow 0
		.amdhsa_exception_fp_ieee_underflow 0
		.amdhsa_exception_fp_ieee_inexact 0
		.amdhsa_exception_int_div_zero 0
	.end_amdhsa_kernel
	.section	.text._ZN2ck32kernel_gemm_xdlops_skip_b_lds_v1INS_48GridwiseGemm_k0mk1_k0nk1_mn_xdlops_skip_b_lds_v1ILi256EfffLNS_25InMemoryDataOperationEnumE0ENS_16TensorDescriptorINS_5TupleIJNS_5EmbedINS4_IJiiEEENS4_IJiNS_17integral_constantIiLi1EEEEEELb0EEENS_7UnMergeINS4_IJiNS7_IiLi4EEEEEELb0EEENS_11PassThroughIiEEEEENS4_IJNS_8SequenceIJLi0EEEENSI_IJLi2EEEENSI_IJLi1EEEEEEENS4_IJNSI_IJLi1ELi2EEEENSI_IJLi3ELi4EEEENSI_IJLi5EEEEEEENSI_IJLi3ELi5ELi4EEEElEENS3_INS4_IJNS5_IS6_NS4_IJS8_iEEELb0EEESE_SG_EEENS4_IJSJ_SL_SK_EEESQ_SR_lEENS3_INS4_IJSA_SG_SG_EEESW_NS4_IJSN_NSI_IJLi3EEEENSI_IJLi4EEEEEEESO_lEENS_16tensor_operation12element_wise11PassThroughES15_S15_Li16ELi128ELi4ELi16ELi16ELi4ELi1ELi2ENSI_IJLi16ELi16ELi1EEEENSI_IJLi1ELi0ELi2EEEES17_Li2ELi4ELi4ELb0ELb1ELi4ELb0ELi4ENSI_IJLi0ELi2ELi4ELi5ELi6ELi1ELi3ELi7EEEELi7ELi1EEEffSS_SX_S12_S15_S15_S15_NS_13TensorAdaptorINS4_IJNSB_IS6_Lb0EEES1B_NS_23Merge_v2_magic_divisionINS4_IJiiiiEEEEEEEENS4_IJSJ_SL_NSI_IJLi2ELi3ELi4ELi5EEEEEEENS4_IJNSI_IJLi2ELi4EEEENSI_IJLi3ELi5EEEENSI_IJLi6EEEEEEENSI_IJLi0ELi1EEEES1K_EELb0EEEvPKT0_S1Q_PT1_T2_T3_T4_T5_T6_T7_T8_,"axG",@progbits,_ZN2ck32kernel_gemm_xdlops_skip_b_lds_v1INS_48GridwiseGemm_k0mk1_k0nk1_mn_xdlops_skip_b_lds_v1ILi256EfffLNS_25InMemoryDataOperationEnumE0ENS_16TensorDescriptorINS_5TupleIJNS_5EmbedINS4_IJiiEEENS4_IJiNS_17integral_constantIiLi1EEEEEELb0EEENS_7UnMergeINS4_IJiNS7_IiLi4EEEEEELb0EEENS_11PassThroughIiEEEEENS4_IJNS_8SequenceIJLi0EEEENSI_IJLi2EEEENSI_IJLi1EEEEEEENS4_IJNSI_IJLi1ELi2EEEENSI_IJLi3ELi4EEEENSI_IJLi5EEEEEEENSI_IJLi3ELi5ELi4EEEElEENS3_INS4_IJNS5_IS6_NS4_IJS8_iEEELb0EEESE_SG_EEENS4_IJSJ_SL_SK_EEESQ_SR_lEENS3_INS4_IJSA_SG_SG_EEESW_NS4_IJSN_NSI_IJLi3EEEENSI_IJLi4EEEEEEESO_lEENS_16tensor_operation12element_wise11PassThroughES15_S15_Li16ELi128ELi4ELi16ELi16ELi4ELi1ELi2ENSI_IJLi16ELi16ELi1EEEENSI_IJLi1ELi0ELi2EEEES17_Li2ELi4ELi4ELb0ELb1ELi4ELb0ELi4ENSI_IJLi0ELi2ELi4ELi5ELi6ELi1ELi3ELi7EEEELi7ELi1EEEffSS_SX_S12_S15_S15_S15_NS_13TensorAdaptorINS4_IJNSB_IS6_Lb0EEES1B_NS_23Merge_v2_magic_divisionINS4_IJiiiiEEEEEEEENS4_IJSJ_SL_NSI_IJLi2ELi3ELi4ELi5EEEEEEENS4_IJNSI_IJLi2ELi4EEEENSI_IJLi3ELi5EEEENSI_IJLi6EEEEEEENSI_IJLi0ELi1EEEES1K_EELb0EEEvPKT0_S1Q_PT1_T2_T3_T4_T5_T6_T7_T8_,comdat
.Lfunc_end2:
	.size	_ZN2ck32kernel_gemm_xdlops_skip_b_lds_v1INS_48GridwiseGemm_k0mk1_k0nk1_mn_xdlops_skip_b_lds_v1ILi256EfffLNS_25InMemoryDataOperationEnumE0ENS_16TensorDescriptorINS_5TupleIJNS_5EmbedINS4_IJiiEEENS4_IJiNS_17integral_constantIiLi1EEEEEELb0EEENS_7UnMergeINS4_IJiNS7_IiLi4EEEEEELb0EEENS_11PassThroughIiEEEEENS4_IJNS_8SequenceIJLi0EEEENSI_IJLi2EEEENSI_IJLi1EEEEEEENS4_IJNSI_IJLi1ELi2EEEENSI_IJLi3ELi4EEEENSI_IJLi5EEEEEEENSI_IJLi3ELi5ELi4EEEElEENS3_INS4_IJNS5_IS6_NS4_IJS8_iEEELb0EEESE_SG_EEENS4_IJSJ_SL_SK_EEESQ_SR_lEENS3_INS4_IJSA_SG_SG_EEESW_NS4_IJSN_NSI_IJLi3EEEENSI_IJLi4EEEEEEESO_lEENS_16tensor_operation12element_wise11PassThroughES15_S15_Li16ELi128ELi4ELi16ELi16ELi4ELi1ELi2ENSI_IJLi16ELi16ELi1EEEENSI_IJLi1ELi0ELi2EEEES17_Li2ELi4ELi4ELb0ELb1ELi4ELb0ELi4ENSI_IJLi0ELi2ELi4ELi5ELi6ELi1ELi3ELi7EEEELi7ELi1EEEffSS_SX_S12_S15_S15_S15_NS_13TensorAdaptorINS4_IJNSB_IS6_Lb0EEES1B_NS_23Merge_v2_magic_divisionINS4_IJiiiiEEEEEEEENS4_IJSJ_SL_NSI_IJLi2ELi3ELi4ELi5EEEEEEENS4_IJNSI_IJLi2ELi4EEEENSI_IJLi3ELi5EEEENSI_IJLi6EEEEEEENSI_IJLi0ELi1EEEES1K_EELb0EEEvPKT0_S1Q_PT1_T2_T3_T4_T5_T6_T7_T8_, .Lfunc_end2-_ZN2ck32kernel_gemm_xdlops_skip_b_lds_v1INS_48GridwiseGemm_k0mk1_k0nk1_mn_xdlops_skip_b_lds_v1ILi256EfffLNS_25InMemoryDataOperationEnumE0ENS_16TensorDescriptorINS_5TupleIJNS_5EmbedINS4_IJiiEEENS4_IJiNS_17integral_constantIiLi1EEEEEELb0EEENS_7UnMergeINS4_IJiNS7_IiLi4EEEEEELb0EEENS_11PassThroughIiEEEEENS4_IJNS_8SequenceIJLi0EEEENSI_IJLi2EEEENSI_IJLi1EEEEEEENS4_IJNSI_IJLi1ELi2EEEENSI_IJLi3ELi4EEEENSI_IJLi5EEEEEEENSI_IJLi3ELi5ELi4EEEElEENS3_INS4_IJNS5_IS6_NS4_IJS8_iEEELb0EEESE_SG_EEENS4_IJSJ_SL_SK_EEESQ_SR_lEENS3_INS4_IJSA_SG_SG_EEESW_NS4_IJSN_NSI_IJLi3EEEENSI_IJLi4EEEEEEESO_lEENS_16tensor_operation12element_wise11PassThroughES15_S15_Li16ELi128ELi4ELi16ELi16ELi4ELi1ELi2ENSI_IJLi16ELi16ELi1EEEENSI_IJLi1ELi0ELi2EEEES17_Li2ELi4ELi4ELb0ELb1ELi4ELb0ELi4ENSI_IJLi0ELi2ELi4ELi5ELi6ELi1ELi3ELi7EEEELi7ELi1EEEffSS_SX_S12_S15_S15_S15_NS_13TensorAdaptorINS4_IJNSB_IS6_Lb0EEES1B_NS_23Merge_v2_magic_divisionINS4_IJiiiiEEEEEEEENS4_IJSJ_SL_NSI_IJLi2ELi3ELi4ELi5EEEEEEENS4_IJNSI_IJLi2ELi4EEEENSI_IJLi3ELi5EEEENSI_IJLi6EEEEEEENSI_IJLi0ELi1EEEES1K_EELb0EEEvPKT0_S1Q_PT1_T2_T3_T4_T5_T6_T7_T8_
                                        ; -- End function
	.set _ZN2ck32kernel_gemm_xdlops_skip_b_lds_v1INS_48GridwiseGemm_k0mk1_k0nk1_mn_xdlops_skip_b_lds_v1ILi256EfffLNS_25InMemoryDataOperationEnumE0ENS_16TensorDescriptorINS_5TupleIJNS_5EmbedINS4_IJiiEEENS4_IJiNS_17integral_constantIiLi1EEEEEELb0EEENS_7UnMergeINS4_IJiNS7_IiLi4EEEEEELb0EEENS_11PassThroughIiEEEEENS4_IJNS_8SequenceIJLi0EEEENSI_IJLi2EEEENSI_IJLi1EEEEEEENS4_IJNSI_IJLi1ELi2EEEENSI_IJLi3ELi4EEEENSI_IJLi5EEEEEEENSI_IJLi3ELi5ELi4EEEElEENS3_INS4_IJNS5_IS6_NS4_IJS8_iEEELb0EEESE_SG_EEENS4_IJSJ_SL_SK_EEESQ_SR_lEENS3_INS4_IJSA_SG_SG_EEESW_NS4_IJSN_NSI_IJLi3EEEENSI_IJLi4EEEEEEESO_lEENS_16tensor_operation12element_wise11PassThroughES15_S15_Li16ELi128ELi4ELi16ELi16ELi4ELi1ELi2ENSI_IJLi16ELi16ELi1EEEENSI_IJLi1ELi0ELi2EEEES17_Li2ELi4ELi4ELb0ELb1ELi4ELb0ELi4ENSI_IJLi0ELi2ELi4ELi5ELi6ELi1ELi3ELi7EEEELi7ELi1EEEffSS_SX_S12_S15_S15_S15_NS_13TensorAdaptorINS4_IJNSB_IS6_Lb0EEES1B_NS_23Merge_v2_magic_divisionINS4_IJiiiiEEEEEEEENS4_IJSJ_SL_NSI_IJLi2ELi3ELi4ELi5EEEEEEENS4_IJNSI_IJLi2ELi4EEEENSI_IJLi3ELi5EEEENSI_IJLi6EEEEEEENSI_IJLi0ELi1EEEES1K_EELb0EEEvPKT0_S1Q_PT1_T2_T3_T4_T5_T6_T7_T8_.num_vgpr, 0
	.set _ZN2ck32kernel_gemm_xdlops_skip_b_lds_v1INS_48GridwiseGemm_k0mk1_k0nk1_mn_xdlops_skip_b_lds_v1ILi256EfffLNS_25InMemoryDataOperationEnumE0ENS_16TensorDescriptorINS_5TupleIJNS_5EmbedINS4_IJiiEEENS4_IJiNS_17integral_constantIiLi1EEEEEELb0EEENS_7UnMergeINS4_IJiNS7_IiLi4EEEEEELb0EEENS_11PassThroughIiEEEEENS4_IJNS_8SequenceIJLi0EEEENSI_IJLi2EEEENSI_IJLi1EEEEEEENS4_IJNSI_IJLi1ELi2EEEENSI_IJLi3ELi4EEEENSI_IJLi5EEEEEEENSI_IJLi3ELi5ELi4EEEElEENS3_INS4_IJNS5_IS6_NS4_IJS8_iEEELb0EEESE_SG_EEENS4_IJSJ_SL_SK_EEESQ_SR_lEENS3_INS4_IJSA_SG_SG_EEESW_NS4_IJSN_NSI_IJLi3EEEENSI_IJLi4EEEEEEESO_lEENS_16tensor_operation12element_wise11PassThroughES15_S15_Li16ELi128ELi4ELi16ELi16ELi4ELi1ELi2ENSI_IJLi16ELi16ELi1EEEENSI_IJLi1ELi0ELi2EEEES17_Li2ELi4ELi4ELb0ELb1ELi4ELb0ELi4ENSI_IJLi0ELi2ELi4ELi5ELi6ELi1ELi3ELi7EEEELi7ELi1EEEffSS_SX_S12_S15_S15_S15_NS_13TensorAdaptorINS4_IJNSB_IS6_Lb0EEES1B_NS_23Merge_v2_magic_divisionINS4_IJiiiiEEEEEEEENS4_IJSJ_SL_NSI_IJLi2ELi3ELi4ELi5EEEEEEENS4_IJNSI_IJLi2ELi4EEEENSI_IJLi3ELi5EEEENSI_IJLi6EEEEEEENSI_IJLi0ELi1EEEES1K_EELb0EEEvPKT0_S1Q_PT1_T2_T3_T4_T5_T6_T7_T8_.num_agpr, 0
	.set _ZN2ck32kernel_gemm_xdlops_skip_b_lds_v1INS_48GridwiseGemm_k0mk1_k0nk1_mn_xdlops_skip_b_lds_v1ILi256EfffLNS_25InMemoryDataOperationEnumE0ENS_16TensorDescriptorINS_5TupleIJNS_5EmbedINS4_IJiiEEENS4_IJiNS_17integral_constantIiLi1EEEEEELb0EEENS_7UnMergeINS4_IJiNS7_IiLi4EEEEEELb0EEENS_11PassThroughIiEEEEENS4_IJNS_8SequenceIJLi0EEEENSI_IJLi2EEEENSI_IJLi1EEEEEEENS4_IJNSI_IJLi1ELi2EEEENSI_IJLi3ELi4EEEENSI_IJLi5EEEEEEENSI_IJLi3ELi5ELi4EEEElEENS3_INS4_IJNS5_IS6_NS4_IJS8_iEEELb0EEESE_SG_EEENS4_IJSJ_SL_SK_EEESQ_SR_lEENS3_INS4_IJSA_SG_SG_EEESW_NS4_IJSN_NSI_IJLi3EEEENSI_IJLi4EEEEEEESO_lEENS_16tensor_operation12element_wise11PassThroughES15_S15_Li16ELi128ELi4ELi16ELi16ELi4ELi1ELi2ENSI_IJLi16ELi16ELi1EEEENSI_IJLi1ELi0ELi2EEEES17_Li2ELi4ELi4ELb0ELb1ELi4ELb0ELi4ENSI_IJLi0ELi2ELi4ELi5ELi6ELi1ELi3ELi7EEEELi7ELi1EEEffSS_SX_S12_S15_S15_S15_NS_13TensorAdaptorINS4_IJNSB_IS6_Lb0EEES1B_NS_23Merge_v2_magic_divisionINS4_IJiiiiEEEEEEEENS4_IJSJ_SL_NSI_IJLi2ELi3ELi4ELi5EEEEEEENS4_IJNSI_IJLi2ELi4EEEENSI_IJLi3ELi5EEEENSI_IJLi6EEEEEEENSI_IJLi0ELi1EEEES1K_EELb0EEEvPKT0_S1Q_PT1_T2_T3_T4_T5_T6_T7_T8_.numbered_sgpr, 0
	.set _ZN2ck32kernel_gemm_xdlops_skip_b_lds_v1INS_48GridwiseGemm_k0mk1_k0nk1_mn_xdlops_skip_b_lds_v1ILi256EfffLNS_25InMemoryDataOperationEnumE0ENS_16TensorDescriptorINS_5TupleIJNS_5EmbedINS4_IJiiEEENS4_IJiNS_17integral_constantIiLi1EEEEEELb0EEENS_7UnMergeINS4_IJiNS7_IiLi4EEEEEELb0EEENS_11PassThroughIiEEEEENS4_IJNS_8SequenceIJLi0EEEENSI_IJLi2EEEENSI_IJLi1EEEEEEENS4_IJNSI_IJLi1ELi2EEEENSI_IJLi3ELi4EEEENSI_IJLi5EEEEEEENSI_IJLi3ELi5ELi4EEEElEENS3_INS4_IJNS5_IS6_NS4_IJS8_iEEELb0EEESE_SG_EEENS4_IJSJ_SL_SK_EEESQ_SR_lEENS3_INS4_IJSA_SG_SG_EEESW_NS4_IJSN_NSI_IJLi3EEEENSI_IJLi4EEEEEEESO_lEENS_16tensor_operation12element_wise11PassThroughES15_S15_Li16ELi128ELi4ELi16ELi16ELi4ELi1ELi2ENSI_IJLi16ELi16ELi1EEEENSI_IJLi1ELi0ELi2EEEES17_Li2ELi4ELi4ELb0ELb1ELi4ELb0ELi4ENSI_IJLi0ELi2ELi4ELi5ELi6ELi1ELi3ELi7EEEELi7ELi1EEEffSS_SX_S12_S15_S15_S15_NS_13TensorAdaptorINS4_IJNSB_IS6_Lb0EEES1B_NS_23Merge_v2_magic_divisionINS4_IJiiiiEEEEEEEENS4_IJSJ_SL_NSI_IJLi2ELi3ELi4ELi5EEEEEEENS4_IJNSI_IJLi2ELi4EEEENSI_IJLi3ELi5EEEENSI_IJLi6EEEEEEENSI_IJLi0ELi1EEEES1K_EELb0EEEvPKT0_S1Q_PT1_T2_T3_T4_T5_T6_T7_T8_.num_named_barrier, 0
	.set _ZN2ck32kernel_gemm_xdlops_skip_b_lds_v1INS_48GridwiseGemm_k0mk1_k0nk1_mn_xdlops_skip_b_lds_v1ILi256EfffLNS_25InMemoryDataOperationEnumE0ENS_16TensorDescriptorINS_5TupleIJNS_5EmbedINS4_IJiiEEENS4_IJiNS_17integral_constantIiLi1EEEEEELb0EEENS_7UnMergeINS4_IJiNS7_IiLi4EEEEEELb0EEENS_11PassThroughIiEEEEENS4_IJNS_8SequenceIJLi0EEEENSI_IJLi2EEEENSI_IJLi1EEEEEEENS4_IJNSI_IJLi1ELi2EEEENSI_IJLi3ELi4EEEENSI_IJLi5EEEEEEENSI_IJLi3ELi5ELi4EEEElEENS3_INS4_IJNS5_IS6_NS4_IJS8_iEEELb0EEESE_SG_EEENS4_IJSJ_SL_SK_EEESQ_SR_lEENS3_INS4_IJSA_SG_SG_EEESW_NS4_IJSN_NSI_IJLi3EEEENSI_IJLi4EEEEEEESO_lEENS_16tensor_operation12element_wise11PassThroughES15_S15_Li16ELi128ELi4ELi16ELi16ELi4ELi1ELi2ENSI_IJLi16ELi16ELi1EEEENSI_IJLi1ELi0ELi2EEEES17_Li2ELi4ELi4ELb0ELb1ELi4ELb0ELi4ENSI_IJLi0ELi2ELi4ELi5ELi6ELi1ELi3ELi7EEEELi7ELi1EEEffSS_SX_S12_S15_S15_S15_NS_13TensorAdaptorINS4_IJNSB_IS6_Lb0EEES1B_NS_23Merge_v2_magic_divisionINS4_IJiiiiEEEEEEEENS4_IJSJ_SL_NSI_IJLi2ELi3ELi4ELi5EEEEEEENS4_IJNSI_IJLi2ELi4EEEENSI_IJLi3ELi5EEEENSI_IJLi6EEEEEEENSI_IJLi0ELi1EEEES1K_EELb0EEEvPKT0_S1Q_PT1_T2_T3_T4_T5_T6_T7_T8_.private_seg_size, 0
	.set _ZN2ck32kernel_gemm_xdlops_skip_b_lds_v1INS_48GridwiseGemm_k0mk1_k0nk1_mn_xdlops_skip_b_lds_v1ILi256EfffLNS_25InMemoryDataOperationEnumE0ENS_16TensorDescriptorINS_5TupleIJNS_5EmbedINS4_IJiiEEENS4_IJiNS_17integral_constantIiLi1EEEEEELb0EEENS_7UnMergeINS4_IJiNS7_IiLi4EEEEEELb0EEENS_11PassThroughIiEEEEENS4_IJNS_8SequenceIJLi0EEEENSI_IJLi2EEEENSI_IJLi1EEEEEEENS4_IJNSI_IJLi1ELi2EEEENSI_IJLi3ELi4EEEENSI_IJLi5EEEEEEENSI_IJLi3ELi5ELi4EEEElEENS3_INS4_IJNS5_IS6_NS4_IJS8_iEEELb0EEESE_SG_EEENS4_IJSJ_SL_SK_EEESQ_SR_lEENS3_INS4_IJSA_SG_SG_EEESW_NS4_IJSN_NSI_IJLi3EEEENSI_IJLi4EEEEEEESO_lEENS_16tensor_operation12element_wise11PassThroughES15_S15_Li16ELi128ELi4ELi16ELi16ELi4ELi1ELi2ENSI_IJLi16ELi16ELi1EEEENSI_IJLi1ELi0ELi2EEEES17_Li2ELi4ELi4ELb0ELb1ELi4ELb0ELi4ENSI_IJLi0ELi2ELi4ELi5ELi6ELi1ELi3ELi7EEEELi7ELi1EEEffSS_SX_S12_S15_S15_S15_NS_13TensorAdaptorINS4_IJNSB_IS6_Lb0EEES1B_NS_23Merge_v2_magic_divisionINS4_IJiiiiEEEEEEEENS4_IJSJ_SL_NSI_IJLi2ELi3ELi4ELi5EEEEEEENS4_IJNSI_IJLi2ELi4EEEENSI_IJLi3ELi5EEEENSI_IJLi6EEEEEEENSI_IJLi0ELi1EEEES1K_EELb0EEEvPKT0_S1Q_PT1_T2_T3_T4_T5_T6_T7_T8_.uses_vcc, 0
	.set _ZN2ck32kernel_gemm_xdlops_skip_b_lds_v1INS_48GridwiseGemm_k0mk1_k0nk1_mn_xdlops_skip_b_lds_v1ILi256EfffLNS_25InMemoryDataOperationEnumE0ENS_16TensorDescriptorINS_5TupleIJNS_5EmbedINS4_IJiiEEENS4_IJiNS_17integral_constantIiLi1EEEEEELb0EEENS_7UnMergeINS4_IJiNS7_IiLi4EEEEEELb0EEENS_11PassThroughIiEEEEENS4_IJNS_8SequenceIJLi0EEEENSI_IJLi2EEEENSI_IJLi1EEEEEEENS4_IJNSI_IJLi1ELi2EEEENSI_IJLi3ELi4EEEENSI_IJLi5EEEEEEENSI_IJLi3ELi5ELi4EEEElEENS3_INS4_IJNS5_IS6_NS4_IJS8_iEEELb0EEESE_SG_EEENS4_IJSJ_SL_SK_EEESQ_SR_lEENS3_INS4_IJSA_SG_SG_EEESW_NS4_IJSN_NSI_IJLi3EEEENSI_IJLi4EEEEEEESO_lEENS_16tensor_operation12element_wise11PassThroughES15_S15_Li16ELi128ELi4ELi16ELi16ELi4ELi1ELi2ENSI_IJLi16ELi16ELi1EEEENSI_IJLi1ELi0ELi2EEEES17_Li2ELi4ELi4ELb0ELb1ELi4ELb0ELi4ENSI_IJLi0ELi2ELi4ELi5ELi6ELi1ELi3ELi7EEEELi7ELi1EEEffSS_SX_S12_S15_S15_S15_NS_13TensorAdaptorINS4_IJNSB_IS6_Lb0EEES1B_NS_23Merge_v2_magic_divisionINS4_IJiiiiEEEEEEEENS4_IJSJ_SL_NSI_IJLi2ELi3ELi4ELi5EEEEEEENS4_IJNSI_IJLi2ELi4EEEENSI_IJLi3ELi5EEEENSI_IJLi6EEEEEEENSI_IJLi0ELi1EEEES1K_EELb0EEEvPKT0_S1Q_PT1_T2_T3_T4_T5_T6_T7_T8_.uses_flat_scratch, 0
	.set _ZN2ck32kernel_gemm_xdlops_skip_b_lds_v1INS_48GridwiseGemm_k0mk1_k0nk1_mn_xdlops_skip_b_lds_v1ILi256EfffLNS_25InMemoryDataOperationEnumE0ENS_16TensorDescriptorINS_5TupleIJNS_5EmbedINS4_IJiiEEENS4_IJiNS_17integral_constantIiLi1EEEEEELb0EEENS_7UnMergeINS4_IJiNS7_IiLi4EEEEEELb0EEENS_11PassThroughIiEEEEENS4_IJNS_8SequenceIJLi0EEEENSI_IJLi2EEEENSI_IJLi1EEEEEEENS4_IJNSI_IJLi1ELi2EEEENSI_IJLi3ELi4EEEENSI_IJLi5EEEEEEENSI_IJLi3ELi5ELi4EEEElEENS3_INS4_IJNS5_IS6_NS4_IJS8_iEEELb0EEESE_SG_EEENS4_IJSJ_SL_SK_EEESQ_SR_lEENS3_INS4_IJSA_SG_SG_EEESW_NS4_IJSN_NSI_IJLi3EEEENSI_IJLi4EEEEEEESO_lEENS_16tensor_operation12element_wise11PassThroughES15_S15_Li16ELi128ELi4ELi16ELi16ELi4ELi1ELi2ENSI_IJLi16ELi16ELi1EEEENSI_IJLi1ELi0ELi2EEEES17_Li2ELi4ELi4ELb0ELb1ELi4ELb0ELi4ENSI_IJLi0ELi2ELi4ELi5ELi6ELi1ELi3ELi7EEEELi7ELi1EEEffSS_SX_S12_S15_S15_S15_NS_13TensorAdaptorINS4_IJNSB_IS6_Lb0EEES1B_NS_23Merge_v2_magic_divisionINS4_IJiiiiEEEEEEEENS4_IJSJ_SL_NSI_IJLi2ELi3ELi4ELi5EEEEEEENS4_IJNSI_IJLi2ELi4EEEENSI_IJLi3ELi5EEEENSI_IJLi6EEEEEEENSI_IJLi0ELi1EEEES1K_EELb0EEEvPKT0_S1Q_PT1_T2_T3_T4_T5_T6_T7_T8_.has_dyn_sized_stack, 0
	.set _ZN2ck32kernel_gemm_xdlops_skip_b_lds_v1INS_48GridwiseGemm_k0mk1_k0nk1_mn_xdlops_skip_b_lds_v1ILi256EfffLNS_25InMemoryDataOperationEnumE0ENS_16TensorDescriptorINS_5TupleIJNS_5EmbedINS4_IJiiEEENS4_IJiNS_17integral_constantIiLi1EEEEEELb0EEENS_7UnMergeINS4_IJiNS7_IiLi4EEEEEELb0EEENS_11PassThroughIiEEEEENS4_IJNS_8SequenceIJLi0EEEENSI_IJLi2EEEENSI_IJLi1EEEEEEENS4_IJNSI_IJLi1ELi2EEEENSI_IJLi3ELi4EEEENSI_IJLi5EEEEEEENSI_IJLi3ELi5ELi4EEEElEENS3_INS4_IJNS5_IS6_NS4_IJS8_iEEELb0EEESE_SG_EEENS4_IJSJ_SL_SK_EEESQ_SR_lEENS3_INS4_IJSA_SG_SG_EEESW_NS4_IJSN_NSI_IJLi3EEEENSI_IJLi4EEEEEEESO_lEENS_16tensor_operation12element_wise11PassThroughES15_S15_Li16ELi128ELi4ELi16ELi16ELi4ELi1ELi2ENSI_IJLi16ELi16ELi1EEEENSI_IJLi1ELi0ELi2EEEES17_Li2ELi4ELi4ELb0ELb1ELi4ELb0ELi4ENSI_IJLi0ELi2ELi4ELi5ELi6ELi1ELi3ELi7EEEELi7ELi1EEEffSS_SX_S12_S15_S15_S15_NS_13TensorAdaptorINS4_IJNSB_IS6_Lb0EEES1B_NS_23Merge_v2_magic_divisionINS4_IJiiiiEEEEEEEENS4_IJSJ_SL_NSI_IJLi2ELi3ELi4ELi5EEEEEEENS4_IJNSI_IJLi2ELi4EEEENSI_IJLi3ELi5EEEENSI_IJLi6EEEEEEENSI_IJLi0ELi1EEEES1K_EELb0EEEvPKT0_S1Q_PT1_T2_T3_T4_T5_T6_T7_T8_.has_recursion, 0
	.set _ZN2ck32kernel_gemm_xdlops_skip_b_lds_v1INS_48GridwiseGemm_k0mk1_k0nk1_mn_xdlops_skip_b_lds_v1ILi256EfffLNS_25InMemoryDataOperationEnumE0ENS_16TensorDescriptorINS_5TupleIJNS_5EmbedINS4_IJiiEEENS4_IJiNS_17integral_constantIiLi1EEEEEELb0EEENS_7UnMergeINS4_IJiNS7_IiLi4EEEEEELb0EEENS_11PassThroughIiEEEEENS4_IJNS_8SequenceIJLi0EEEENSI_IJLi2EEEENSI_IJLi1EEEEEEENS4_IJNSI_IJLi1ELi2EEEENSI_IJLi3ELi4EEEENSI_IJLi5EEEEEEENSI_IJLi3ELi5ELi4EEEElEENS3_INS4_IJNS5_IS6_NS4_IJS8_iEEELb0EEESE_SG_EEENS4_IJSJ_SL_SK_EEESQ_SR_lEENS3_INS4_IJSA_SG_SG_EEESW_NS4_IJSN_NSI_IJLi3EEEENSI_IJLi4EEEEEEESO_lEENS_16tensor_operation12element_wise11PassThroughES15_S15_Li16ELi128ELi4ELi16ELi16ELi4ELi1ELi2ENSI_IJLi16ELi16ELi1EEEENSI_IJLi1ELi0ELi2EEEES17_Li2ELi4ELi4ELb0ELb1ELi4ELb0ELi4ENSI_IJLi0ELi2ELi4ELi5ELi6ELi1ELi3ELi7EEEELi7ELi1EEEffSS_SX_S12_S15_S15_S15_NS_13TensorAdaptorINS4_IJNSB_IS6_Lb0EEES1B_NS_23Merge_v2_magic_divisionINS4_IJiiiiEEEEEEEENS4_IJSJ_SL_NSI_IJLi2ELi3ELi4ELi5EEEEEEENS4_IJNSI_IJLi2ELi4EEEENSI_IJLi3ELi5EEEENSI_IJLi6EEEEEEENSI_IJLi0ELi1EEEES1K_EELb0EEEvPKT0_S1Q_PT1_T2_T3_T4_T5_T6_T7_T8_.has_indirect_call, 0
	.section	.AMDGPU.csdata,"",@progbits
; Kernel info:
; codeLenInByte = 4
; TotalNumSgprs: 0
; NumVgprs: 0
; ScratchSize: 0
; MemoryBound: 0
; FloatMode: 240
; IeeeMode: 1
; LDSByteSize: 0 bytes/workgroup (compile time only)
; SGPRBlocks: 0
; VGPRBlocks: 0
; NumSGPRsForWavesPerEU: 1
; NumVGPRsForWavesPerEU: 1
; Occupancy: 16
; WaveLimiterHint : 0
; COMPUTE_PGM_RSRC2:SCRATCH_EN: 0
; COMPUTE_PGM_RSRC2:USER_SGPR: 2
; COMPUTE_PGM_RSRC2:TRAP_HANDLER: 0
; COMPUTE_PGM_RSRC2:TGID_X_EN: 1
; COMPUTE_PGM_RSRC2:TGID_Y_EN: 0
; COMPUTE_PGM_RSRC2:TGID_Z_EN: 0
; COMPUTE_PGM_RSRC2:TIDIG_COMP_CNT: 0
	.section	.text._ZN2ck32kernel_gemm_xdlops_skip_b_lds_v1INS_48GridwiseGemm_k0mk1_k0nk1_mn_xdlops_skip_b_lds_v1ILi256EfffLNS_25InMemoryDataOperationEnumE0ENS_16TensorDescriptorINS_5TupleIJNS_5EmbedINS4_IJiiEEENS4_IJiNS_17integral_constantIiLi1EEEEEELb0EEENS_7UnMergeINS4_IJiNS7_IiLi4EEEEEELb0EEENS_11PassThroughIiEEEEENS4_IJNS_8SequenceIJLi0EEEENSI_IJLi2EEEENSI_IJLi1EEEEEEENS4_IJNSI_IJLi1ELi2EEEENSI_IJLi3ELi4EEEENSI_IJLi5EEEEEEENSI_IJLi3ELi5ELi4EEEElEENS3_INS4_IJNS5_IS6_NS4_IJS8_iEEELb0EEESE_SG_EEENS4_IJSJ_SL_SK_EEESQ_SR_lEENS3_INS4_IJSA_SG_SG_EEESW_NS4_IJSN_NSI_IJLi3EEEENSI_IJLi4EEEEEEESO_lEENS_16tensor_operation12element_wise11PassThroughES15_S15_Li16ELi128ELi4ELi16ELi16ELi4ELi1ELi1ENSI_IJLi16ELi16ELi1EEEENSI_IJLi1ELi0ELi2EEEES17_Li2ELi4ELi4ELb0ELb1ELi4ELb0ELi4ENSI_IJLi0ELi2ELi4ELi5ELi6ELi1ELi3ELi7EEEELi7ELi1EEEffSS_SX_S12_S15_S15_S15_NS_13TensorAdaptorINS4_IJNSB_IS6_Lb0EEES1B_NS_23Merge_v2_magic_divisionINS4_IJiiiiEEEEEEEENS4_IJSJ_SL_NSI_IJLi2ELi3ELi4ELi5EEEEEEENS4_IJNSI_IJLi2ELi4EEEENSI_IJLi3ELi5EEEENSI_IJLi6EEEEEEENSI_IJLi0ELi1EEEES1K_EELb1EEEvPKT0_S1Q_PT1_T2_T3_T4_T5_T6_T7_T8_,"axG",@progbits,_ZN2ck32kernel_gemm_xdlops_skip_b_lds_v1INS_48GridwiseGemm_k0mk1_k0nk1_mn_xdlops_skip_b_lds_v1ILi256EfffLNS_25InMemoryDataOperationEnumE0ENS_16TensorDescriptorINS_5TupleIJNS_5EmbedINS4_IJiiEEENS4_IJiNS_17integral_constantIiLi1EEEEEELb0EEENS_7UnMergeINS4_IJiNS7_IiLi4EEEEEELb0EEENS_11PassThroughIiEEEEENS4_IJNS_8SequenceIJLi0EEEENSI_IJLi2EEEENSI_IJLi1EEEEEEENS4_IJNSI_IJLi1ELi2EEEENSI_IJLi3ELi4EEEENSI_IJLi5EEEEEEENSI_IJLi3ELi5ELi4EEEElEENS3_INS4_IJNS5_IS6_NS4_IJS8_iEEELb0EEESE_SG_EEENS4_IJSJ_SL_SK_EEESQ_SR_lEENS3_INS4_IJSA_SG_SG_EEESW_NS4_IJSN_NSI_IJLi3EEEENSI_IJLi4EEEEEEESO_lEENS_16tensor_operation12element_wise11PassThroughES15_S15_Li16ELi128ELi4ELi16ELi16ELi4ELi1ELi1ENSI_IJLi16ELi16ELi1EEEENSI_IJLi1ELi0ELi2EEEES17_Li2ELi4ELi4ELb0ELb1ELi4ELb0ELi4ENSI_IJLi0ELi2ELi4ELi5ELi6ELi1ELi3ELi7EEEELi7ELi1EEEffSS_SX_S12_S15_S15_S15_NS_13TensorAdaptorINS4_IJNSB_IS6_Lb0EEES1B_NS_23Merge_v2_magic_divisionINS4_IJiiiiEEEEEEEENS4_IJSJ_SL_NSI_IJLi2ELi3ELi4ELi5EEEEEEENS4_IJNSI_IJLi2ELi4EEEENSI_IJLi3ELi5EEEENSI_IJLi6EEEEEEENSI_IJLi0ELi1EEEES1K_EELb1EEEvPKT0_S1Q_PT1_T2_T3_T4_T5_T6_T7_T8_,comdat
	.protected	_ZN2ck32kernel_gemm_xdlops_skip_b_lds_v1INS_48GridwiseGemm_k0mk1_k0nk1_mn_xdlops_skip_b_lds_v1ILi256EfffLNS_25InMemoryDataOperationEnumE0ENS_16TensorDescriptorINS_5TupleIJNS_5EmbedINS4_IJiiEEENS4_IJiNS_17integral_constantIiLi1EEEEEELb0EEENS_7UnMergeINS4_IJiNS7_IiLi4EEEEEELb0EEENS_11PassThroughIiEEEEENS4_IJNS_8SequenceIJLi0EEEENSI_IJLi2EEEENSI_IJLi1EEEEEEENS4_IJNSI_IJLi1ELi2EEEENSI_IJLi3ELi4EEEENSI_IJLi5EEEEEEENSI_IJLi3ELi5ELi4EEEElEENS3_INS4_IJNS5_IS6_NS4_IJS8_iEEELb0EEESE_SG_EEENS4_IJSJ_SL_SK_EEESQ_SR_lEENS3_INS4_IJSA_SG_SG_EEESW_NS4_IJSN_NSI_IJLi3EEEENSI_IJLi4EEEEEEESO_lEENS_16tensor_operation12element_wise11PassThroughES15_S15_Li16ELi128ELi4ELi16ELi16ELi4ELi1ELi1ENSI_IJLi16ELi16ELi1EEEENSI_IJLi1ELi0ELi2EEEES17_Li2ELi4ELi4ELb0ELb1ELi4ELb0ELi4ENSI_IJLi0ELi2ELi4ELi5ELi6ELi1ELi3ELi7EEEELi7ELi1EEEffSS_SX_S12_S15_S15_S15_NS_13TensorAdaptorINS4_IJNSB_IS6_Lb0EEES1B_NS_23Merge_v2_magic_divisionINS4_IJiiiiEEEEEEEENS4_IJSJ_SL_NSI_IJLi2ELi3ELi4ELi5EEEEEEENS4_IJNSI_IJLi2ELi4EEEENSI_IJLi3ELi5EEEENSI_IJLi6EEEEEEENSI_IJLi0ELi1EEEES1K_EELb1EEEvPKT0_S1Q_PT1_T2_T3_T4_T5_T6_T7_T8_ ; -- Begin function _ZN2ck32kernel_gemm_xdlops_skip_b_lds_v1INS_48GridwiseGemm_k0mk1_k0nk1_mn_xdlops_skip_b_lds_v1ILi256EfffLNS_25InMemoryDataOperationEnumE0ENS_16TensorDescriptorINS_5TupleIJNS_5EmbedINS4_IJiiEEENS4_IJiNS_17integral_constantIiLi1EEEEEELb0EEENS_7UnMergeINS4_IJiNS7_IiLi4EEEEEELb0EEENS_11PassThroughIiEEEEENS4_IJNS_8SequenceIJLi0EEEENSI_IJLi2EEEENSI_IJLi1EEEEEEENS4_IJNSI_IJLi1ELi2EEEENSI_IJLi3ELi4EEEENSI_IJLi5EEEEEEENSI_IJLi3ELi5ELi4EEEElEENS3_INS4_IJNS5_IS6_NS4_IJS8_iEEELb0EEESE_SG_EEENS4_IJSJ_SL_SK_EEESQ_SR_lEENS3_INS4_IJSA_SG_SG_EEESW_NS4_IJSN_NSI_IJLi3EEEENSI_IJLi4EEEEEEESO_lEENS_16tensor_operation12element_wise11PassThroughES15_S15_Li16ELi128ELi4ELi16ELi16ELi4ELi1ELi1ENSI_IJLi16ELi16ELi1EEEENSI_IJLi1ELi0ELi2EEEES17_Li2ELi4ELi4ELb0ELb1ELi4ELb0ELi4ENSI_IJLi0ELi2ELi4ELi5ELi6ELi1ELi3ELi7EEEELi7ELi1EEEffSS_SX_S12_S15_S15_S15_NS_13TensorAdaptorINS4_IJNSB_IS6_Lb0EEES1B_NS_23Merge_v2_magic_divisionINS4_IJiiiiEEEEEEEENS4_IJSJ_SL_NSI_IJLi2ELi3ELi4ELi5EEEEEEENS4_IJNSI_IJLi2ELi4EEEENSI_IJLi3ELi5EEEENSI_IJLi6EEEEEEENSI_IJLi0ELi1EEEES1K_EELb1EEEvPKT0_S1Q_PT1_T2_T3_T4_T5_T6_T7_T8_
	.globl	_ZN2ck32kernel_gemm_xdlops_skip_b_lds_v1INS_48GridwiseGemm_k0mk1_k0nk1_mn_xdlops_skip_b_lds_v1ILi256EfffLNS_25InMemoryDataOperationEnumE0ENS_16TensorDescriptorINS_5TupleIJNS_5EmbedINS4_IJiiEEENS4_IJiNS_17integral_constantIiLi1EEEEEELb0EEENS_7UnMergeINS4_IJiNS7_IiLi4EEEEEELb0EEENS_11PassThroughIiEEEEENS4_IJNS_8SequenceIJLi0EEEENSI_IJLi2EEEENSI_IJLi1EEEEEEENS4_IJNSI_IJLi1ELi2EEEENSI_IJLi3ELi4EEEENSI_IJLi5EEEEEEENSI_IJLi3ELi5ELi4EEEElEENS3_INS4_IJNS5_IS6_NS4_IJS8_iEEELb0EEESE_SG_EEENS4_IJSJ_SL_SK_EEESQ_SR_lEENS3_INS4_IJSA_SG_SG_EEESW_NS4_IJSN_NSI_IJLi3EEEENSI_IJLi4EEEEEEESO_lEENS_16tensor_operation12element_wise11PassThroughES15_S15_Li16ELi128ELi4ELi16ELi16ELi4ELi1ELi1ENSI_IJLi16ELi16ELi1EEEENSI_IJLi1ELi0ELi2EEEES17_Li2ELi4ELi4ELb0ELb1ELi4ELb0ELi4ENSI_IJLi0ELi2ELi4ELi5ELi6ELi1ELi3ELi7EEEELi7ELi1EEEffSS_SX_S12_S15_S15_S15_NS_13TensorAdaptorINS4_IJNSB_IS6_Lb0EEES1B_NS_23Merge_v2_magic_divisionINS4_IJiiiiEEEEEEEENS4_IJSJ_SL_NSI_IJLi2ELi3ELi4ELi5EEEEEEENS4_IJNSI_IJLi2ELi4EEEENSI_IJLi3ELi5EEEENSI_IJLi6EEEEEEENSI_IJLi0ELi1EEEES1K_EELb1EEEvPKT0_S1Q_PT1_T2_T3_T4_T5_T6_T7_T8_
	.p2align	8
	.type	_ZN2ck32kernel_gemm_xdlops_skip_b_lds_v1INS_48GridwiseGemm_k0mk1_k0nk1_mn_xdlops_skip_b_lds_v1ILi256EfffLNS_25InMemoryDataOperationEnumE0ENS_16TensorDescriptorINS_5TupleIJNS_5EmbedINS4_IJiiEEENS4_IJiNS_17integral_constantIiLi1EEEEEELb0EEENS_7UnMergeINS4_IJiNS7_IiLi4EEEEEELb0EEENS_11PassThroughIiEEEEENS4_IJNS_8SequenceIJLi0EEEENSI_IJLi2EEEENSI_IJLi1EEEEEEENS4_IJNSI_IJLi1ELi2EEEENSI_IJLi3ELi4EEEENSI_IJLi5EEEEEEENSI_IJLi3ELi5ELi4EEEElEENS3_INS4_IJNS5_IS6_NS4_IJS8_iEEELb0EEESE_SG_EEENS4_IJSJ_SL_SK_EEESQ_SR_lEENS3_INS4_IJSA_SG_SG_EEESW_NS4_IJSN_NSI_IJLi3EEEENSI_IJLi4EEEEEEESO_lEENS_16tensor_operation12element_wise11PassThroughES15_S15_Li16ELi128ELi4ELi16ELi16ELi4ELi1ELi1ENSI_IJLi16ELi16ELi1EEEENSI_IJLi1ELi0ELi2EEEES17_Li2ELi4ELi4ELb0ELb1ELi4ELb0ELi4ENSI_IJLi0ELi2ELi4ELi5ELi6ELi1ELi3ELi7EEEELi7ELi1EEEffSS_SX_S12_S15_S15_S15_NS_13TensorAdaptorINS4_IJNSB_IS6_Lb0EEES1B_NS_23Merge_v2_magic_divisionINS4_IJiiiiEEEEEEEENS4_IJSJ_SL_NSI_IJLi2ELi3ELi4ELi5EEEEEEENS4_IJNSI_IJLi2ELi4EEEENSI_IJLi3ELi5EEEENSI_IJLi6EEEEEEENSI_IJLi0ELi1EEEES1K_EELb1EEEvPKT0_S1Q_PT1_T2_T3_T4_T5_T6_T7_T8_,@function
_ZN2ck32kernel_gemm_xdlops_skip_b_lds_v1INS_48GridwiseGemm_k0mk1_k0nk1_mn_xdlops_skip_b_lds_v1ILi256EfffLNS_25InMemoryDataOperationEnumE0ENS_16TensorDescriptorINS_5TupleIJNS_5EmbedINS4_IJiiEEENS4_IJiNS_17integral_constantIiLi1EEEEEELb0EEENS_7UnMergeINS4_IJiNS7_IiLi4EEEEEELb0EEENS_11PassThroughIiEEEEENS4_IJNS_8SequenceIJLi0EEEENSI_IJLi2EEEENSI_IJLi1EEEEEEENS4_IJNSI_IJLi1ELi2EEEENSI_IJLi3ELi4EEEENSI_IJLi5EEEEEEENSI_IJLi3ELi5ELi4EEEElEENS3_INS4_IJNS5_IS6_NS4_IJS8_iEEELb0EEESE_SG_EEENS4_IJSJ_SL_SK_EEESQ_SR_lEENS3_INS4_IJSA_SG_SG_EEESW_NS4_IJSN_NSI_IJLi3EEEENSI_IJLi4EEEEEEESO_lEENS_16tensor_operation12element_wise11PassThroughES15_S15_Li16ELi128ELi4ELi16ELi16ELi4ELi1ELi1ENSI_IJLi16ELi16ELi1EEEENSI_IJLi1ELi0ELi2EEEES17_Li2ELi4ELi4ELb0ELb1ELi4ELb0ELi4ENSI_IJLi0ELi2ELi4ELi5ELi6ELi1ELi3ELi7EEEELi7ELi1EEEffSS_SX_S12_S15_S15_S15_NS_13TensorAdaptorINS4_IJNSB_IS6_Lb0EEES1B_NS_23Merge_v2_magic_divisionINS4_IJiiiiEEEEEEEENS4_IJSJ_SL_NSI_IJLi2ELi3ELi4ELi5EEEEEEENS4_IJNSI_IJLi2ELi4EEEENSI_IJLi3ELi5EEEENSI_IJLi6EEEEEEENSI_IJLi0ELi1EEEES1K_EELb1EEEvPKT0_S1Q_PT1_T2_T3_T4_T5_T6_T7_T8_: ; @_ZN2ck32kernel_gemm_xdlops_skip_b_lds_v1INS_48GridwiseGemm_k0mk1_k0nk1_mn_xdlops_skip_b_lds_v1ILi256EfffLNS_25InMemoryDataOperationEnumE0ENS_16TensorDescriptorINS_5TupleIJNS_5EmbedINS4_IJiiEEENS4_IJiNS_17integral_constantIiLi1EEEEEELb0EEENS_7UnMergeINS4_IJiNS7_IiLi4EEEEEELb0EEENS_11PassThroughIiEEEEENS4_IJNS_8SequenceIJLi0EEEENSI_IJLi2EEEENSI_IJLi1EEEEEEENS4_IJNSI_IJLi1ELi2EEEENSI_IJLi3ELi4EEEENSI_IJLi5EEEEEEENSI_IJLi3ELi5ELi4EEEElEENS3_INS4_IJNS5_IS6_NS4_IJS8_iEEELb0EEESE_SG_EEENS4_IJSJ_SL_SK_EEESQ_SR_lEENS3_INS4_IJSA_SG_SG_EEESW_NS4_IJSN_NSI_IJLi3EEEENSI_IJLi4EEEEEEESO_lEENS_16tensor_operation12element_wise11PassThroughES15_S15_Li16ELi128ELi4ELi16ELi16ELi4ELi1ELi1ENSI_IJLi16ELi16ELi1EEEENSI_IJLi1ELi0ELi2EEEES17_Li2ELi4ELi4ELb0ELb1ELi4ELb0ELi4ENSI_IJLi0ELi2ELi4ELi5ELi6ELi1ELi3ELi7EEEELi7ELi1EEEffSS_SX_S12_S15_S15_S15_NS_13TensorAdaptorINS4_IJNSB_IS6_Lb0EEES1B_NS_23Merge_v2_magic_divisionINS4_IJiiiiEEEEEEEENS4_IJSJ_SL_NSI_IJLi2ELi3ELi4ELi5EEEEEEENS4_IJNSI_IJLi2ELi4EEEENSI_IJLi3ELi5EEEENSI_IJLi6EEEEEEENSI_IJLi0ELi1EEEES1K_EELb1EEEvPKT0_S1Q_PT1_T2_T3_T4_T5_T6_T7_T8_
; %bb.0:
	s_clause 0x3
	s_load_b96 s[4:6], s[0:1], 0xd8
	s_load_b96 s[16:18], s[0:1], 0xe8
	;; [unrolled: 1-line block ×3, first 2 shown]
	s_load_b32 s2, s[0:1], 0xac
	v_lshrrev_b32_e32 v1, 4, v0
	s_load_b32 s20, s[0:1], 0x28
	s_wait_kmcnt 0x0
	s_mul_hi_u32 s3, s6, ttmp9
	s_delay_alu instid0(SALU_CYCLE_1) | instskip(NEXT) | instid1(SALU_CYCLE_1)
	s_add_co_i32 s3, ttmp9, s3
	s_lshr_b32 s7, s3, s18
	s_delay_alu instid0(SALU_CYCLE_1) | instskip(SKIP_4) | instid1(SALU_CYCLE_1)
	s_mul_hi_u32 s3, s7, s5
	s_clause 0x1
	s_load_b32 s5, s[0:1], 0x20
	s_load_b64 s[8:9], s[0:1], 0x0
	s_add_co_i32 s3, s7, s3
	s_lshr_b32 s6, s3, s17
	s_clause 0x1
	s_load_b32 s10, s[0:1], 0x40
	s_load_b32 s3, s[0:1], 0xbc
	s_mul_hi_u32 s4, s6, s4
	s_mul_i32 s11, s6, s13
	s_add_co_i32 s4, s6, s4
	s_sub_co_i32 s11, s7, s11
	s_lshr_b32 s15, s4, s16
	s_delay_alu instid0(SALU_CYCLE_1) | instskip(NEXT) | instid1(SALU_CYCLE_1)
	s_mul_i32 s13, s15, s2
	s_add_co_i32 s13, s13, s11
	s_mov_b32 s11, 0x31004000
	v_lshl_or_b32 v2, s13, 4, v1
	v_and_b32_e32 v1, 15, v0
	s_wait_kmcnt 0x0
	s_and_b32 s9, s9, 0xffff
	s_delay_alu instid0(VALU_DEP_2) | instskip(NEXT) | instid1(VALU_DEP_2)
	v_mul_lo_u32 v2, v2, s5
	v_lshlrev_b32_e32 v3, 2, v1
	s_lshl_b32 s10, s10, 2
	s_clause 0x2
	s_load_b64 s[4:5], s[0:1], 0x10
	s_load_b32 s2, s[0:1], 0x80
	s_load_b64 s[0:1], s[0:1], 0x98
	s_getpc_b64 s[16:17]
	s_sext_i32_i16 s17, s17
	s_add_co_u32 s16, s16, _ZN2ck53BlockwiseGemmXdlops_k0mk1_k0nk1_m0n0m1n1m2m3m4n2_v1r1ILi256EffKNS_16TensorDescriptorINS_5TupleIJNS_5EmbedINS2_IJNS_17integral_constantIiLi4EEENS4_IiLi16EEES5_EEENS2_IJNS4_IiLi68EEES5_NS4_IiLi1EEEEEELb0EEEEEENS2_IJNS_8SequenceIJLi0EEEEEEENS2_IJNSD_IJLi1ELi2ELi3EEEEEEESG_NS4_IlLl268EEEEEKNS1_INS2_IJNS_7UnMergeINS2_IJS9_S9_NS4_IiLi2EEES9_S9_S9_S9_S5_EEELb0EEEEEESF_NS2_IJNSD_IJLi1ELi2ELi3ELi4ELi5ELi6ELi7ELi8EEEEEEESQ_NS4_IlLl8EEEEELi16ELi128ELi4ELi16ELi16ELi1ELi1ELi4EE6MWavesE@rel32@lo+8
	s_add_co_ci_u32 s17, s17, _ZN2ck53BlockwiseGemmXdlops_k0mk1_k0nk1_m0n0m1n1m2m3m4n2_v1r1ILi256EffKNS_16TensorDescriptorINS_5TupleIJNS_5EmbedINS2_IJNS_17integral_constantIiLi4EEENS4_IiLi16EEES5_EEENS2_IJNS4_IiLi68EEES5_NS4_IiLi1EEEEEELb0EEEEEENS2_IJNS_8SequenceIJLi0EEEEEEENS2_IJNSD_IJLi1ELi2ELi3EEEEEEESG_NS4_IlLl268EEEEEKNS1_INS2_IJNS_7UnMergeINS2_IJS9_S9_NS4_IiLi2EEES9_S9_S9_S9_S5_EEELb0EEEEEESF_NS2_IJNSD_IJLi1ELi2ELi3ELi4ELi5ELi6ELi7ELi8EEEEEEESQ_NS4_IlLl8EEEEELi16ELi128ELi4ELi16ELi16ELi1ELi1ELi4EE6MWavesE@rel32@hi+16
	s_getpc_b64 s[18:19]
	s_sext_i32_i16 s19, s19
	s_add_co_u32 s18, s18, _ZN2ck53BlockwiseGemmXdlops_k0mk1_k0nk1_m0n0m1n1m2m3m4n2_v1r1ILi256EffKNS_16TensorDescriptorINS_5TupleIJNS_5EmbedINS2_IJNS_17integral_constantIiLi4EEENS4_IiLi16EEES5_EEENS2_IJNS4_IiLi68EEES5_NS4_IiLi1EEEEEELb0EEEEEENS2_IJNS_8SequenceIJLi0EEEEEEENS2_IJNSD_IJLi1ELi2ELi3EEEEEEESG_NS4_IlLl268EEEEEKNS1_INS2_IJNS_7UnMergeINS2_IJS9_S9_NS4_IiLi2EEES9_S9_S9_S9_S5_EEELb0EEEEEESF_NS2_IJNSD_IJLi1ELi2ELi3ELi4ELi5ELi6ELi7ELi8EEEEEEESQ_NS4_IlLl8EEEEELi16ELi128ELi4ELi16ELi16ELi1ELi1ELi4EE6NWavesE@rel32@lo+8
	s_add_co_ci_u32 s19, s19, _ZN2ck53BlockwiseGemmXdlops_k0mk1_k0nk1_m0n0m1n1m2m3m4n2_v1r1ILi256EffKNS_16TensorDescriptorINS_5TupleIJNS_5EmbedINS2_IJNS_17integral_constantIiLi4EEENS4_IiLi16EEES5_EEENS2_IJNS4_IiLi68EEES5_NS4_IiLi1EEEEEELb0EEEEEENS2_IJNS_8SequenceIJLi0EEEEEEENS2_IJNSD_IJLi1ELi2ELi3EEEEEEESG_NS4_IlLl268EEEEEKNS1_INS2_IJNS_7UnMergeINS2_IJS9_S9_NS4_IiLi2EEES9_S9_S9_S9_S5_EEELb0EEEEEESF_NS2_IJNSD_IJLi1ELi2ELi3ELi4ELi5ELi6ELi7ELi8EEEEEEESQ_NS4_IlLl8EEEEELi16ELi128ELi4ELi16ELi16ELi1ELi1ELi4EE6NWavesE@rel32@hi+16
	v_mul_u32_u24_e32 v8, 0x110, v1
	v_add_lshl_u32 v2, v2, v3, 2
	v_and_b32_e32 v3, 0xf0, v0
	buffer_load_b128 v[4:7], v2, s[8:11], null offen
	s_load_b32 s16, s[16:17], 0x0
	s_wait_kmcnt 0x0
	s_load_b32 s1, s[18:19], 0x0
	s_ashr_i32 s17, s20, 31
	v_mad_u32_u24 v9, 0x110, v1, v3
	s_lshr_b32 s17, s17, 28
	v_add_nc_u32_e32 v2, 0x100, v2
	s_add_co_i32 s20, s20, s17
	v_add_nc_u32_e32 v3, v8, v3
	s_ashr_i32 s17, s20, 4
	s_delay_alu instid0(SALU_CYCLE_1) | instskip(NEXT) | instid1(SALU_CYCLE_1)
	s_max_i32 s17, s17, 2
	s_add_co_i32 s17, s17, -1
	s_wait_loadcnt 0x0
	ds_store_b128 v9, v[4:7]
.LBB3_1:                                ; =>This Inner Loop Header: Depth=1
	buffer_load_b128 v[4:7], v2, s[8:11], null offen
	v_add_nc_u32_e32 v2, 0x100, v2
	s_add_co_i32 s17, s17, -1
	s_wait_dscnt 0x0
	s_cmp_lg_u32 s17, 0
	s_barrier_signal -1
	s_barrier_wait -1
	;;#ASMSTART
	    s_nop 0 
     
	;;#ASMEND
	;;#ASMSTART
	    s_nop 0 
     
	;;#ASMEND
	;; [unrolled: 4-line block ×4, first 2 shown]
	s_wait_dscnt 0x0
	s_barrier_signal -1
	s_barrier_wait -1
	s_wait_loadcnt 0x0
	ds_store_b128 v3, v[4:7]
	s_cbranch_scc1 .LBB3_1
; %bb.2:
	v_lshrrev_b32_e32 v0, 1, v0
	s_mul_i32 s16, s16, s13
	s_mul_i32 s15, s15, s12
	;; [unrolled: 1-line block ×3, first 2 shown]
	s_sub_co_i32 s6, s6, s15
	v_dual_mov_b32 v5, 0 :: v_dual_and_b32 v2, 8, v0
	s_sub_co_i32 s7, ttmp9, s7
	s_mul_i32 s6, s6, s3
	v_and_or_b32 v0, 0x70, v0, v1
	s_delay_alu instid0(VALU_DEP_2)
	v_lshl_or_b32 v2, s16, 4, v2
	s_add_co_i32 s7, s7, s6
	s_lshl_b32 s6, s0, 2
	s_and_b32 s3, s7, 0x1ffffff
	s_and_b32 s5, s5, 0xffff
	v_mul_lo_u32 v2, v2, s2
	s_wait_kmcnt 0x0
	s_mul_i32 s1, s1, s3
	s_mov_b32 s7, 0x31004000
	s_lshl_b32 s1, s1, 4
	s_wait_dscnt 0x0
	s_barrier_signal -1
	s_barrier_wait -1
	v_add3_u32 v0, v0, s1, v2
	s_delay_alu instid0(VALU_DEP_1) | instskip(SKIP_1) | instid1(VALU_DEP_2)
	v_add_nc_u32_e32 v1, s2, v0
	v_lshlrev_b32_e32 v0, 2, v0
	v_add_nc_u32_e32 v2, s2, v1
	v_lshlrev_b32_e32 v1, 2, v1
	s_clause 0x1
	buffer_store_b32 v5, v0, s[4:7], null offen
	buffer_store_b32 v5, v1, s[4:7], null offen
	v_add_nc_u32_e32 v3, s2, v2
	v_lshlrev_b32_e32 v2, 2, v2
	s_delay_alu instid0(VALU_DEP_2) | instskip(SKIP_4) | instid1(VALU_DEP_2)
	v_add_nc_u32_e32 v4, s2, v3
	v_lshlrev_b32_e32 v1, 2, v3
	buffer_store_b32 v5, v2, s[4:7], null offen
	v_add_nc_u32_e32 v6, s2, v4
	v_lshlrev_b32_e32 v2, 2, v4
	v_add_nc_u32_e32 v0, s2, v6
	v_lshlrev_b32_e32 v3, 2, v6
	s_delay_alu instid0(VALU_DEP_2)
	v_lshlrev_b32_e32 v4, 2, v0
	v_add_lshl_u32 v0, v0, s2, 2
	s_clause 0x4
	buffer_store_b32 v5, v1, s[4:7], null offen
	buffer_store_b32 v5, v2, s[4:7], null offen
	;; [unrolled: 1-line block ×5, first 2 shown]
	s_endpgm
	.section	.rodata,"a",@progbits
	.p2align	6, 0x0
	.amdhsa_kernel _ZN2ck32kernel_gemm_xdlops_skip_b_lds_v1INS_48GridwiseGemm_k0mk1_k0nk1_mn_xdlops_skip_b_lds_v1ILi256EfffLNS_25InMemoryDataOperationEnumE0ENS_16TensorDescriptorINS_5TupleIJNS_5EmbedINS4_IJiiEEENS4_IJiNS_17integral_constantIiLi1EEEEEELb0EEENS_7UnMergeINS4_IJiNS7_IiLi4EEEEEELb0EEENS_11PassThroughIiEEEEENS4_IJNS_8SequenceIJLi0EEEENSI_IJLi2EEEENSI_IJLi1EEEEEEENS4_IJNSI_IJLi1ELi2EEEENSI_IJLi3ELi4EEEENSI_IJLi5EEEEEEENSI_IJLi3ELi5ELi4EEEElEENS3_INS4_IJNS5_IS6_NS4_IJS8_iEEELb0EEESE_SG_EEENS4_IJSJ_SL_SK_EEESQ_SR_lEENS3_INS4_IJSA_SG_SG_EEESW_NS4_IJSN_NSI_IJLi3EEEENSI_IJLi4EEEEEEESO_lEENS_16tensor_operation12element_wise11PassThroughES15_S15_Li16ELi128ELi4ELi16ELi16ELi4ELi1ELi1ENSI_IJLi16ELi16ELi1EEEENSI_IJLi1ELi0ELi2EEEES17_Li2ELi4ELi4ELb0ELb1ELi4ELb0ELi4ENSI_IJLi0ELi2ELi4ELi5ELi6ELi1ELi3ELi7EEEELi7ELi1EEEffSS_SX_S12_S15_S15_S15_NS_13TensorAdaptorINS4_IJNSB_IS6_Lb0EEES1B_NS_23Merge_v2_magic_divisionINS4_IJiiiiEEEEEEEENS4_IJSJ_SL_NSI_IJLi2ELi3ELi4ELi5EEEEEEENS4_IJNSI_IJLi2ELi4EEEENSI_IJLi3ELi5EEEENSI_IJLi6EEEEEEENSI_IJLi0ELi1EEEES1K_EELb1EEEvPKT0_S1Q_PT1_T2_T3_T4_T5_T6_T7_T8_
		.amdhsa_group_segment_fixed_size 1072
		.amdhsa_private_segment_fixed_size 0
		.amdhsa_kernarg_size 252
		.amdhsa_user_sgpr_count 2
		.amdhsa_user_sgpr_dispatch_ptr 0
		.amdhsa_user_sgpr_queue_ptr 0
		.amdhsa_user_sgpr_kernarg_segment_ptr 1
		.amdhsa_user_sgpr_dispatch_id 0
		.amdhsa_user_sgpr_private_segment_size 0
		.amdhsa_wavefront_size32 1
		.amdhsa_uses_dynamic_stack 0
		.amdhsa_enable_private_segment 0
		.amdhsa_system_sgpr_workgroup_id_x 1
		.amdhsa_system_sgpr_workgroup_id_y 0
		.amdhsa_system_sgpr_workgroup_id_z 0
		.amdhsa_system_sgpr_workgroup_info 0
		.amdhsa_system_vgpr_workitem_id 0
		.amdhsa_next_free_vgpr 10
		.amdhsa_next_free_sgpr 21
		.amdhsa_reserve_vcc 0
		.amdhsa_float_round_mode_32 0
		.amdhsa_float_round_mode_16_64 0
		.amdhsa_float_denorm_mode_32 3
		.amdhsa_float_denorm_mode_16_64 3
		.amdhsa_fp16_overflow 0
		.amdhsa_workgroup_processor_mode 1
		.amdhsa_memory_ordered 1
		.amdhsa_forward_progress 1
		.amdhsa_inst_pref_size 7
		.amdhsa_round_robin_scheduling 0
		.amdhsa_exception_fp_ieee_invalid_op 0
		.amdhsa_exception_fp_denorm_src 0
		.amdhsa_exception_fp_ieee_div_zero 0
		.amdhsa_exception_fp_ieee_overflow 0
		.amdhsa_exception_fp_ieee_underflow 0
		.amdhsa_exception_fp_ieee_inexact 0
		.amdhsa_exception_int_div_zero 0
	.end_amdhsa_kernel
	.section	.text._ZN2ck32kernel_gemm_xdlops_skip_b_lds_v1INS_48GridwiseGemm_k0mk1_k0nk1_mn_xdlops_skip_b_lds_v1ILi256EfffLNS_25InMemoryDataOperationEnumE0ENS_16TensorDescriptorINS_5TupleIJNS_5EmbedINS4_IJiiEEENS4_IJiNS_17integral_constantIiLi1EEEEEELb0EEENS_7UnMergeINS4_IJiNS7_IiLi4EEEEEELb0EEENS_11PassThroughIiEEEEENS4_IJNS_8SequenceIJLi0EEEENSI_IJLi2EEEENSI_IJLi1EEEEEEENS4_IJNSI_IJLi1ELi2EEEENSI_IJLi3ELi4EEEENSI_IJLi5EEEEEEENSI_IJLi3ELi5ELi4EEEElEENS3_INS4_IJNS5_IS6_NS4_IJS8_iEEELb0EEESE_SG_EEENS4_IJSJ_SL_SK_EEESQ_SR_lEENS3_INS4_IJSA_SG_SG_EEESW_NS4_IJSN_NSI_IJLi3EEEENSI_IJLi4EEEEEEESO_lEENS_16tensor_operation12element_wise11PassThroughES15_S15_Li16ELi128ELi4ELi16ELi16ELi4ELi1ELi1ENSI_IJLi16ELi16ELi1EEEENSI_IJLi1ELi0ELi2EEEES17_Li2ELi4ELi4ELb0ELb1ELi4ELb0ELi4ENSI_IJLi0ELi2ELi4ELi5ELi6ELi1ELi3ELi7EEEELi7ELi1EEEffSS_SX_S12_S15_S15_S15_NS_13TensorAdaptorINS4_IJNSB_IS6_Lb0EEES1B_NS_23Merge_v2_magic_divisionINS4_IJiiiiEEEEEEEENS4_IJSJ_SL_NSI_IJLi2ELi3ELi4ELi5EEEEEEENS4_IJNSI_IJLi2ELi4EEEENSI_IJLi3ELi5EEEENSI_IJLi6EEEEEEENSI_IJLi0ELi1EEEES1K_EELb1EEEvPKT0_S1Q_PT1_T2_T3_T4_T5_T6_T7_T8_,"axG",@progbits,_ZN2ck32kernel_gemm_xdlops_skip_b_lds_v1INS_48GridwiseGemm_k0mk1_k0nk1_mn_xdlops_skip_b_lds_v1ILi256EfffLNS_25InMemoryDataOperationEnumE0ENS_16TensorDescriptorINS_5TupleIJNS_5EmbedINS4_IJiiEEENS4_IJiNS_17integral_constantIiLi1EEEEEELb0EEENS_7UnMergeINS4_IJiNS7_IiLi4EEEEEELb0EEENS_11PassThroughIiEEEEENS4_IJNS_8SequenceIJLi0EEEENSI_IJLi2EEEENSI_IJLi1EEEEEEENS4_IJNSI_IJLi1ELi2EEEENSI_IJLi3ELi4EEEENSI_IJLi5EEEEEEENSI_IJLi3ELi5ELi4EEEElEENS3_INS4_IJNS5_IS6_NS4_IJS8_iEEELb0EEESE_SG_EEENS4_IJSJ_SL_SK_EEESQ_SR_lEENS3_INS4_IJSA_SG_SG_EEESW_NS4_IJSN_NSI_IJLi3EEEENSI_IJLi4EEEEEEESO_lEENS_16tensor_operation12element_wise11PassThroughES15_S15_Li16ELi128ELi4ELi16ELi16ELi4ELi1ELi1ENSI_IJLi16ELi16ELi1EEEENSI_IJLi1ELi0ELi2EEEES17_Li2ELi4ELi4ELb0ELb1ELi4ELb0ELi4ENSI_IJLi0ELi2ELi4ELi5ELi6ELi1ELi3ELi7EEEELi7ELi1EEEffSS_SX_S12_S15_S15_S15_NS_13TensorAdaptorINS4_IJNSB_IS6_Lb0EEES1B_NS_23Merge_v2_magic_divisionINS4_IJiiiiEEEEEEEENS4_IJSJ_SL_NSI_IJLi2ELi3ELi4ELi5EEEEEEENS4_IJNSI_IJLi2ELi4EEEENSI_IJLi3ELi5EEEENSI_IJLi6EEEEEEENSI_IJLi0ELi1EEEES1K_EELb1EEEvPKT0_S1Q_PT1_T2_T3_T4_T5_T6_T7_T8_,comdat
.Lfunc_end3:
	.size	_ZN2ck32kernel_gemm_xdlops_skip_b_lds_v1INS_48GridwiseGemm_k0mk1_k0nk1_mn_xdlops_skip_b_lds_v1ILi256EfffLNS_25InMemoryDataOperationEnumE0ENS_16TensorDescriptorINS_5TupleIJNS_5EmbedINS4_IJiiEEENS4_IJiNS_17integral_constantIiLi1EEEEEELb0EEENS_7UnMergeINS4_IJiNS7_IiLi4EEEEEELb0EEENS_11PassThroughIiEEEEENS4_IJNS_8SequenceIJLi0EEEENSI_IJLi2EEEENSI_IJLi1EEEEEEENS4_IJNSI_IJLi1ELi2EEEENSI_IJLi3ELi4EEEENSI_IJLi5EEEEEEENSI_IJLi3ELi5ELi4EEEElEENS3_INS4_IJNS5_IS6_NS4_IJS8_iEEELb0EEESE_SG_EEENS4_IJSJ_SL_SK_EEESQ_SR_lEENS3_INS4_IJSA_SG_SG_EEESW_NS4_IJSN_NSI_IJLi3EEEENSI_IJLi4EEEEEEESO_lEENS_16tensor_operation12element_wise11PassThroughES15_S15_Li16ELi128ELi4ELi16ELi16ELi4ELi1ELi1ENSI_IJLi16ELi16ELi1EEEENSI_IJLi1ELi0ELi2EEEES17_Li2ELi4ELi4ELb0ELb1ELi4ELb0ELi4ENSI_IJLi0ELi2ELi4ELi5ELi6ELi1ELi3ELi7EEEELi7ELi1EEEffSS_SX_S12_S15_S15_S15_NS_13TensorAdaptorINS4_IJNSB_IS6_Lb0EEES1B_NS_23Merge_v2_magic_divisionINS4_IJiiiiEEEEEEEENS4_IJSJ_SL_NSI_IJLi2ELi3ELi4ELi5EEEEEEENS4_IJNSI_IJLi2ELi4EEEENSI_IJLi3ELi5EEEENSI_IJLi6EEEEEEENSI_IJLi0ELi1EEEES1K_EELb1EEEvPKT0_S1Q_PT1_T2_T3_T4_T5_T6_T7_T8_, .Lfunc_end3-_ZN2ck32kernel_gemm_xdlops_skip_b_lds_v1INS_48GridwiseGemm_k0mk1_k0nk1_mn_xdlops_skip_b_lds_v1ILi256EfffLNS_25InMemoryDataOperationEnumE0ENS_16TensorDescriptorINS_5TupleIJNS_5EmbedINS4_IJiiEEENS4_IJiNS_17integral_constantIiLi1EEEEEELb0EEENS_7UnMergeINS4_IJiNS7_IiLi4EEEEEELb0EEENS_11PassThroughIiEEEEENS4_IJNS_8SequenceIJLi0EEEENSI_IJLi2EEEENSI_IJLi1EEEEEEENS4_IJNSI_IJLi1ELi2EEEENSI_IJLi3ELi4EEEENSI_IJLi5EEEEEEENSI_IJLi3ELi5ELi4EEEElEENS3_INS4_IJNS5_IS6_NS4_IJS8_iEEELb0EEESE_SG_EEENS4_IJSJ_SL_SK_EEESQ_SR_lEENS3_INS4_IJSA_SG_SG_EEESW_NS4_IJSN_NSI_IJLi3EEEENSI_IJLi4EEEEEEESO_lEENS_16tensor_operation12element_wise11PassThroughES15_S15_Li16ELi128ELi4ELi16ELi16ELi4ELi1ELi1ENSI_IJLi16ELi16ELi1EEEENSI_IJLi1ELi0ELi2EEEES17_Li2ELi4ELi4ELb0ELb1ELi4ELb0ELi4ENSI_IJLi0ELi2ELi4ELi5ELi6ELi1ELi3ELi7EEEELi7ELi1EEEffSS_SX_S12_S15_S15_S15_NS_13TensorAdaptorINS4_IJNSB_IS6_Lb0EEES1B_NS_23Merge_v2_magic_divisionINS4_IJiiiiEEEEEEEENS4_IJSJ_SL_NSI_IJLi2ELi3ELi4ELi5EEEEEEENS4_IJNSI_IJLi2ELi4EEEENSI_IJLi3ELi5EEEENSI_IJLi6EEEEEEENSI_IJLi0ELi1EEEES1K_EELb1EEEvPKT0_S1Q_PT1_T2_T3_T4_T5_T6_T7_T8_
                                        ; -- End function
	.set _ZN2ck32kernel_gemm_xdlops_skip_b_lds_v1INS_48GridwiseGemm_k0mk1_k0nk1_mn_xdlops_skip_b_lds_v1ILi256EfffLNS_25InMemoryDataOperationEnumE0ENS_16TensorDescriptorINS_5TupleIJNS_5EmbedINS4_IJiiEEENS4_IJiNS_17integral_constantIiLi1EEEEEELb0EEENS_7UnMergeINS4_IJiNS7_IiLi4EEEEEELb0EEENS_11PassThroughIiEEEEENS4_IJNS_8SequenceIJLi0EEEENSI_IJLi2EEEENSI_IJLi1EEEEEEENS4_IJNSI_IJLi1ELi2EEEENSI_IJLi3ELi4EEEENSI_IJLi5EEEEEEENSI_IJLi3ELi5ELi4EEEElEENS3_INS4_IJNS5_IS6_NS4_IJS8_iEEELb0EEESE_SG_EEENS4_IJSJ_SL_SK_EEESQ_SR_lEENS3_INS4_IJSA_SG_SG_EEESW_NS4_IJSN_NSI_IJLi3EEEENSI_IJLi4EEEEEEESO_lEENS_16tensor_operation12element_wise11PassThroughES15_S15_Li16ELi128ELi4ELi16ELi16ELi4ELi1ELi1ENSI_IJLi16ELi16ELi1EEEENSI_IJLi1ELi0ELi2EEEES17_Li2ELi4ELi4ELb0ELb1ELi4ELb0ELi4ENSI_IJLi0ELi2ELi4ELi5ELi6ELi1ELi3ELi7EEEELi7ELi1EEEffSS_SX_S12_S15_S15_S15_NS_13TensorAdaptorINS4_IJNSB_IS6_Lb0EEES1B_NS_23Merge_v2_magic_divisionINS4_IJiiiiEEEEEEEENS4_IJSJ_SL_NSI_IJLi2ELi3ELi4ELi5EEEEEEENS4_IJNSI_IJLi2ELi4EEEENSI_IJLi3ELi5EEEENSI_IJLi6EEEEEEENSI_IJLi0ELi1EEEES1K_EELb1EEEvPKT0_S1Q_PT1_T2_T3_T4_T5_T6_T7_T8_.num_vgpr, 10
	.set _ZN2ck32kernel_gemm_xdlops_skip_b_lds_v1INS_48GridwiseGemm_k0mk1_k0nk1_mn_xdlops_skip_b_lds_v1ILi256EfffLNS_25InMemoryDataOperationEnumE0ENS_16TensorDescriptorINS_5TupleIJNS_5EmbedINS4_IJiiEEENS4_IJiNS_17integral_constantIiLi1EEEEEELb0EEENS_7UnMergeINS4_IJiNS7_IiLi4EEEEEELb0EEENS_11PassThroughIiEEEEENS4_IJNS_8SequenceIJLi0EEEENSI_IJLi2EEEENSI_IJLi1EEEEEEENS4_IJNSI_IJLi1ELi2EEEENSI_IJLi3ELi4EEEENSI_IJLi5EEEEEEENSI_IJLi3ELi5ELi4EEEElEENS3_INS4_IJNS5_IS6_NS4_IJS8_iEEELb0EEESE_SG_EEENS4_IJSJ_SL_SK_EEESQ_SR_lEENS3_INS4_IJSA_SG_SG_EEESW_NS4_IJSN_NSI_IJLi3EEEENSI_IJLi4EEEEEEESO_lEENS_16tensor_operation12element_wise11PassThroughES15_S15_Li16ELi128ELi4ELi16ELi16ELi4ELi1ELi1ENSI_IJLi16ELi16ELi1EEEENSI_IJLi1ELi0ELi2EEEES17_Li2ELi4ELi4ELb0ELb1ELi4ELb0ELi4ENSI_IJLi0ELi2ELi4ELi5ELi6ELi1ELi3ELi7EEEELi7ELi1EEEffSS_SX_S12_S15_S15_S15_NS_13TensorAdaptorINS4_IJNSB_IS6_Lb0EEES1B_NS_23Merge_v2_magic_divisionINS4_IJiiiiEEEEEEEENS4_IJSJ_SL_NSI_IJLi2ELi3ELi4ELi5EEEEEEENS4_IJNSI_IJLi2ELi4EEEENSI_IJLi3ELi5EEEENSI_IJLi6EEEEEEENSI_IJLi0ELi1EEEES1K_EELb1EEEvPKT0_S1Q_PT1_T2_T3_T4_T5_T6_T7_T8_.num_agpr, 0
	.set _ZN2ck32kernel_gemm_xdlops_skip_b_lds_v1INS_48GridwiseGemm_k0mk1_k0nk1_mn_xdlops_skip_b_lds_v1ILi256EfffLNS_25InMemoryDataOperationEnumE0ENS_16TensorDescriptorINS_5TupleIJNS_5EmbedINS4_IJiiEEENS4_IJiNS_17integral_constantIiLi1EEEEEELb0EEENS_7UnMergeINS4_IJiNS7_IiLi4EEEEEELb0EEENS_11PassThroughIiEEEEENS4_IJNS_8SequenceIJLi0EEEENSI_IJLi2EEEENSI_IJLi1EEEEEEENS4_IJNSI_IJLi1ELi2EEEENSI_IJLi3ELi4EEEENSI_IJLi5EEEEEEENSI_IJLi3ELi5ELi4EEEElEENS3_INS4_IJNS5_IS6_NS4_IJS8_iEEELb0EEESE_SG_EEENS4_IJSJ_SL_SK_EEESQ_SR_lEENS3_INS4_IJSA_SG_SG_EEESW_NS4_IJSN_NSI_IJLi3EEEENSI_IJLi4EEEEEEESO_lEENS_16tensor_operation12element_wise11PassThroughES15_S15_Li16ELi128ELi4ELi16ELi16ELi4ELi1ELi1ENSI_IJLi16ELi16ELi1EEEENSI_IJLi1ELi0ELi2EEEES17_Li2ELi4ELi4ELb0ELb1ELi4ELb0ELi4ENSI_IJLi0ELi2ELi4ELi5ELi6ELi1ELi3ELi7EEEELi7ELi1EEEffSS_SX_S12_S15_S15_S15_NS_13TensorAdaptorINS4_IJNSB_IS6_Lb0EEES1B_NS_23Merge_v2_magic_divisionINS4_IJiiiiEEEEEEEENS4_IJSJ_SL_NSI_IJLi2ELi3ELi4ELi5EEEEEEENS4_IJNSI_IJLi2ELi4EEEENSI_IJLi3ELi5EEEENSI_IJLi6EEEEEEENSI_IJLi0ELi1EEEES1K_EELb1EEEvPKT0_S1Q_PT1_T2_T3_T4_T5_T6_T7_T8_.numbered_sgpr, 21
	.set _ZN2ck32kernel_gemm_xdlops_skip_b_lds_v1INS_48GridwiseGemm_k0mk1_k0nk1_mn_xdlops_skip_b_lds_v1ILi256EfffLNS_25InMemoryDataOperationEnumE0ENS_16TensorDescriptorINS_5TupleIJNS_5EmbedINS4_IJiiEEENS4_IJiNS_17integral_constantIiLi1EEEEEELb0EEENS_7UnMergeINS4_IJiNS7_IiLi4EEEEEELb0EEENS_11PassThroughIiEEEEENS4_IJNS_8SequenceIJLi0EEEENSI_IJLi2EEEENSI_IJLi1EEEEEEENS4_IJNSI_IJLi1ELi2EEEENSI_IJLi3ELi4EEEENSI_IJLi5EEEEEEENSI_IJLi3ELi5ELi4EEEElEENS3_INS4_IJNS5_IS6_NS4_IJS8_iEEELb0EEESE_SG_EEENS4_IJSJ_SL_SK_EEESQ_SR_lEENS3_INS4_IJSA_SG_SG_EEESW_NS4_IJSN_NSI_IJLi3EEEENSI_IJLi4EEEEEEESO_lEENS_16tensor_operation12element_wise11PassThroughES15_S15_Li16ELi128ELi4ELi16ELi16ELi4ELi1ELi1ENSI_IJLi16ELi16ELi1EEEENSI_IJLi1ELi0ELi2EEEES17_Li2ELi4ELi4ELb0ELb1ELi4ELb0ELi4ENSI_IJLi0ELi2ELi4ELi5ELi6ELi1ELi3ELi7EEEELi7ELi1EEEffSS_SX_S12_S15_S15_S15_NS_13TensorAdaptorINS4_IJNSB_IS6_Lb0EEES1B_NS_23Merge_v2_magic_divisionINS4_IJiiiiEEEEEEEENS4_IJSJ_SL_NSI_IJLi2ELi3ELi4ELi5EEEEEEENS4_IJNSI_IJLi2ELi4EEEENSI_IJLi3ELi5EEEENSI_IJLi6EEEEEEENSI_IJLi0ELi1EEEES1K_EELb1EEEvPKT0_S1Q_PT1_T2_T3_T4_T5_T6_T7_T8_.num_named_barrier, 0
	.set _ZN2ck32kernel_gemm_xdlops_skip_b_lds_v1INS_48GridwiseGemm_k0mk1_k0nk1_mn_xdlops_skip_b_lds_v1ILi256EfffLNS_25InMemoryDataOperationEnumE0ENS_16TensorDescriptorINS_5TupleIJNS_5EmbedINS4_IJiiEEENS4_IJiNS_17integral_constantIiLi1EEEEEELb0EEENS_7UnMergeINS4_IJiNS7_IiLi4EEEEEELb0EEENS_11PassThroughIiEEEEENS4_IJNS_8SequenceIJLi0EEEENSI_IJLi2EEEENSI_IJLi1EEEEEEENS4_IJNSI_IJLi1ELi2EEEENSI_IJLi3ELi4EEEENSI_IJLi5EEEEEEENSI_IJLi3ELi5ELi4EEEElEENS3_INS4_IJNS5_IS6_NS4_IJS8_iEEELb0EEESE_SG_EEENS4_IJSJ_SL_SK_EEESQ_SR_lEENS3_INS4_IJSA_SG_SG_EEESW_NS4_IJSN_NSI_IJLi3EEEENSI_IJLi4EEEEEEESO_lEENS_16tensor_operation12element_wise11PassThroughES15_S15_Li16ELi128ELi4ELi16ELi16ELi4ELi1ELi1ENSI_IJLi16ELi16ELi1EEEENSI_IJLi1ELi0ELi2EEEES17_Li2ELi4ELi4ELb0ELb1ELi4ELb0ELi4ENSI_IJLi0ELi2ELi4ELi5ELi6ELi1ELi3ELi7EEEELi7ELi1EEEffSS_SX_S12_S15_S15_S15_NS_13TensorAdaptorINS4_IJNSB_IS6_Lb0EEES1B_NS_23Merge_v2_magic_divisionINS4_IJiiiiEEEEEEEENS4_IJSJ_SL_NSI_IJLi2ELi3ELi4ELi5EEEEEEENS4_IJNSI_IJLi2ELi4EEEENSI_IJLi3ELi5EEEENSI_IJLi6EEEEEEENSI_IJLi0ELi1EEEES1K_EELb1EEEvPKT0_S1Q_PT1_T2_T3_T4_T5_T6_T7_T8_.private_seg_size, 0
	.set _ZN2ck32kernel_gemm_xdlops_skip_b_lds_v1INS_48GridwiseGemm_k0mk1_k0nk1_mn_xdlops_skip_b_lds_v1ILi256EfffLNS_25InMemoryDataOperationEnumE0ENS_16TensorDescriptorINS_5TupleIJNS_5EmbedINS4_IJiiEEENS4_IJiNS_17integral_constantIiLi1EEEEEELb0EEENS_7UnMergeINS4_IJiNS7_IiLi4EEEEEELb0EEENS_11PassThroughIiEEEEENS4_IJNS_8SequenceIJLi0EEEENSI_IJLi2EEEENSI_IJLi1EEEEEEENS4_IJNSI_IJLi1ELi2EEEENSI_IJLi3ELi4EEEENSI_IJLi5EEEEEEENSI_IJLi3ELi5ELi4EEEElEENS3_INS4_IJNS5_IS6_NS4_IJS8_iEEELb0EEESE_SG_EEENS4_IJSJ_SL_SK_EEESQ_SR_lEENS3_INS4_IJSA_SG_SG_EEESW_NS4_IJSN_NSI_IJLi3EEEENSI_IJLi4EEEEEEESO_lEENS_16tensor_operation12element_wise11PassThroughES15_S15_Li16ELi128ELi4ELi16ELi16ELi4ELi1ELi1ENSI_IJLi16ELi16ELi1EEEENSI_IJLi1ELi0ELi2EEEES17_Li2ELi4ELi4ELb0ELb1ELi4ELb0ELi4ENSI_IJLi0ELi2ELi4ELi5ELi6ELi1ELi3ELi7EEEELi7ELi1EEEffSS_SX_S12_S15_S15_S15_NS_13TensorAdaptorINS4_IJNSB_IS6_Lb0EEES1B_NS_23Merge_v2_magic_divisionINS4_IJiiiiEEEEEEEENS4_IJSJ_SL_NSI_IJLi2ELi3ELi4ELi5EEEEEEENS4_IJNSI_IJLi2ELi4EEEENSI_IJLi3ELi5EEEENSI_IJLi6EEEEEEENSI_IJLi0ELi1EEEES1K_EELb1EEEvPKT0_S1Q_PT1_T2_T3_T4_T5_T6_T7_T8_.uses_vcc, 0
	.set _ZN2ck32kernel_gemm_xdlops_skip_b_lds_v1INS_48GridwiseGemm_k0mk1_k0nk1_mn_xdlops_skip_b_lds_v1ILi256EfffLNS_25InMemoryDataOperationEnumE0ENS_16TensorDescriptorINS_5TupleIJNS_5EmbedINS4_IJiiEEENS4_IJiNS_17integral_constantIiLi1EEEEEELb0EEENS_7UnMergeINS4_IJiNS7_IiLi4EEEEEELb0EEENS_11PassThroughIiEEEEENS4_IJNS_8SequenceIJLi0EEEENSI_IJLi2EEEENSI_IJLi1EEEEEEENS4_IJNSI_IJLi1ELi2EEEENSI_IJLi3ELi4EEEENSI_IJLi5EEEEEEENSI_IJLi3ELi5ELi4EEEElEENS3_INS4_IJNS5_IS6_NS4_IJS8_iEEELb0EEESE_SG_EEENS4_IJSJ_SL_SK_EEESQ_SR_lEENS3_INS4_IJSA_SG_SG_EEESW_NS4_IJSN_NSI_IJLi3EEEENSI_IJLi4EEEEEEESO_lEENS_16tensor_operation12element_wise11PassThroughES15_S15_Li16ELi128ELi4ELi16ELi16ELi4ELi1ELi1ENSI_IJLi16ELi16ELi1EEEENSI_IJLi1ELi0ELi2EEEES17_Li2ELi4ELi4ELb0ELb1ELi4ELb0ELi4ENSI_IJLi0ELi2ELi4ELi5ELi6ELi1ELi3ELi7EEEELi7ELi1EEEffSS_SX_S12_S15_S15_S15_NS_13TensorAdaptorINS4_IJNSB_IS6_Lb0EEES1B_NS_23Merge_v2_magic_divisionINS4_IJiiiiEEEEEEEENS4_IJSJ_SL_NSI_IJLi2ELi3ELi4ELi5EEEEEEENS4_IJNSI_IJLi2ELi4EEEENSI_IJLi3ELi5EEEENSI_IJLi6EEEEEEENSI_IJLi0ELi1EEEES1K_EELb1EEEvPKT0_S1Q_PT1_T2_T3_T4_T5_T6_T7_T8_.uses_flat_scratch, 0
	.set _ZN2ck32kernel_gemm_xdlops_skip_b_lds_v1INS_48GridwiseGemm_k0mk1_k0nk1_mn_xdlops_skip_b_lds_v1ILi256EfffLNS_25InMemoryDataOperationEnumE0ENS_16TensorDescriptorINS_5TupleIJNS_5EmbedINS4_IJiiEEENS4_IJiNS_17integral_constantIiLi1EEEEEELb0EEENS_7UnMergeINS4_IJiNS7_IiLi4EEEEEELb0EEENS_11PassThroughIiEEEEENS4_IJNS_8SequenceIJLi0EEEENSI_IJLi2EEEENSI_IJLi1EEEEEEENS4_IJNSI_IJLi1ELi2EEEENSI_IJLi3ELi4EEEENSI_IJLi5EEEEEEENSI_IJLi3ELi5ELi4EEEElEENS3_INS4_IJNS5_IS6_NS4_IJS8_iEEELb0EEESE_SG_EEENS4_IJSJ_SL_SK_EEESQ_SR_lEENS3_INS4_IJSA_SG_SG_EEESW_NS4_IJSN_NSI_IJLi3EEEENSI_IJLi4EEEEEEESO_lEENS_16tensor_operation12element_wise11PassThroughES15_S15_Li16ELi128ELi4ELi16ELi16ELi4ELi1ELi1ENSI_IJLi16ELi16ELi1EEEENSI_IJLi1ELi0ELi2EEEES17_Li2ELi4ELi4ELb0ELb1ELi4ELb0ELi4ENSI_IJLi0ELi2ELi4ELi5ELi6ELi1ELi3ELi7EEEELi7ELi1EEEffSS_SX_S12_S15_S15_S15_NS_13TensorAdaptorINS4_IJNSB_IS6_Lb0EEES1B_NS_23Merge_v2_magic_divisionINS4_IJiiiiEEEEEEEENS4_IJSJ_SL_NSI_IJLi2ELi3ELi4ELi5EEEEEEENS4_IJNSI_IJLi2ELi4EEEENSI_IJLi3ELi5EEEENSI_IJLi6EEEEEEENSI_IJLi0ELi1EEEES1K_EELb1EEEvPKT0_S1Q_PT1_T2_T3_T4_T5_T6_T7_T8_.has_dyn_sized_stack, 0
	.set _ZN2ck32kernel_gemm_xdlops_skip_b_lds_v1INS_48GridwiseGemm_k0mk1_k0nk1_mn_xdlops_skip_b_lds_v1ILi256EfffLNS_25InMemoryDataOperationEnumE0ENS_16TensorDescriptorINS_5TupleIJNS_5EmbedINS4_IJiiEEENS4_IJiNS_17integral_constantIiLi1EEEEEELb0EEENS_7UnMergeINS4_IJiNS7_IiLi4EEEEEELb0EEENS_11PassThroughIiEEEEENS4_IJNS_8SequenceIJLi0EEEENSI_IJLi2EEEENSI_IJLi1EEEEEEENS4_IJNSI_IJLi1ELi2EEEENSI_IJLi3ELi4EEEENSI_IJLi5EEEEEEENSI_IJLi3ELi5ELi4EEEElEENS3_INS4_IJNS5_IS6_NS4_IJS8_iEEELb0EEESE_SG_EEENS4_IJSJ_SL_SK_EEESQ_SR_lEENS3_INS4_IJSA_SG_SG_EEESW_NS4_IJSN_NSI_IJLi3EEEENSI_IJLi4EEEEEEESO_lEENS_16tensor_operation12element_wise11PassThroughES15_S15_Li16ELi128ELi4ELi16ELi16ELi4ELi1ELi1ENSI_IJLi16ELi16ELi1EEEENSI_IJLi1ELi0ELi2EEEES17_Li2ELi4ELi4ELb0ELb1ELi4ELb0ELi4ENSI_IJLi0ELi2ELi4ELi5ELi6ELi1ELi3ELi7EEEELi7ELi1EEEffSS_SX_S12_S15_S15_S15_NS_13TensorAdaptorINS4_IJNSB_IS6_Lb0EEES1B_NS_23Merge_v2_magic_divisionINS4_IJiiiiEEEEEEEENS4_IJSJ_SL_NSI_IJLi2ELi3ELi4ELi5EEEEEEENS4_IJNSI_IJLi2ELi4EEEENSI_IJLi3ELi5EEEENSI_IJLi6EEEEEEENSI_IJLi0ELi1EEEES1K_EELb1EEEvPKT0_S1Q_PT1_T2_T3_T4_T5_T6_T7_T8_.has_recursion, 0
	.set _ZN2ck32kernel_gemm_xdlops_skip_b_lds_v1INS_48GridwiseGemm_k0mk1_k0nk1_mn_xdlops_skip_b_lds_v1ILi256EfffLNS_25InMemoryDataOperationEnumE0ENS_16TensorDescriptorINS_5TupleIJNS_5EmbedINS4_IJiiEEENS4_IJiNS_17integral_constantIiLi1EEEEEELb0EEENS_7UnMergeINS4_IJiNS7_IiLi4EEEEEELb0EEENS_11PassThroughIiEEEEENS4_IJNS_8SequenceIJLi0EEEENSI_IJLi2EEEENSI_IJLi1EEEEEEENS4_IJNSI_IJLi1ELi2EEEENSI_IJLi3ELi4EEEENSI_IJLi5EEEEEEENSI_IJLi3ELi5ELi4EEEElEENS3_INS4_IJNS5_IS6_NS4_IJS8_iEEELb0EEESE_SG_EEENS4_IJSJ_SL_SK_EEESQ_SR_lEENS3_INS4_IJSA_SG_SG_EEESW_NS4_IJSN_NSI_IJLi3EEEENSI_IJLi4EEEEEEESO_lEENS_16tensor_operation12element_wise11PassThroughES15_S15_Li16ELi128ELi4ELi16ELi16ELi4ELi1ELi1ENSI_IJLi16ELi16ELi1EEEENSI_IJLi1ELi0ELi2EEEES17_Li2ELi4ELi4ELb0ELb1ELi4ELb0ELi4ENSI_IJLi0ELi2ELi4ELi5ELi6ELi1ELi3ELi7EEEELi7ELi1EEEffSS_SX_S12_S15_S15_S15_NS_13TensorAdaptorINS4_IJNSB_IS6_Lb0EEES1B_NS_23Merge_v2_magic_divisionINS4_IJiiiiEEEEEEEENS4_IJSJ_SL_NSI_IJLi2ELi3ELi4ELi5EEEEEEENS4_IJNSI_IJLi2ELi4EEEENSI_IJLi3ELi5EEEENSI_IJLi6EEEEEEENSI_IJLi0ELi1EEEES1K_EELb1EEEvPKT0_S1Q_PT1_T2_T3_T4_T5_T6_T7_T8_.has_indirect_call, 0
	.section	.AMDGPU.csdata,"",@progbits
; Kernel info:
; codeLenInByte = 784
; TotalNumSgprs: 21
; NumVgprs: 10
; ScratchSize: 0
; MemoryBound: 0
; FloatMode: 240
; IeeeMode: 1
; LDSByteSize: 1072 bytes/workgroup (compile time only)
; SGPRBlocks: 0
; VGPRBlocks: 1
; NumSGPRsForWavesPerEU: 21
; NumVGPRsForWavesPerEU: 10
; Occupancy: 16
; WaveLimiterHint : 0
; COMPUTE_PGM_RSRC2:SCRATCH_EN: 0
; COMPUTE_PGM_RSRC2:USER_SGPR: 2
; COMPUTE_PGM_RSRC2:TRAP_HANDLER: 0
; COMPUTE_PGM_RSRC2:TGID_X_EN: 1
; COMPUTE_PGM_RSRC2:TGID_Y_EN: 0
; COMPUTE_PGM_RSRC2:TGID_Z_EN: 0
; COMPUTE_PGM_RSRC2:TIDIG_COMP_CNT: 0
	.section	.text._ZN2ck32kernel_gemm_xdlops_skip_b_lds_v1INS_48GridwiseGemm_k0mk1_k0nk1_mn_xdlops_skip_b_lds_v1ILi256EfffLNS_25InMemoryDataOperationEnumE0ENS_16TensorDescriptorINS_5TupleIJNS_5EmbedINS4_IJiiEEENS4_IJiNS_17integral_constantIiLi1EEEEEELb0EEENS_7UnMergeINS4_IJiNS7_IiLi4EEEEEELb0EEENS_11PassThroughIiEEEEENS4_IJNS_8SequenceIJLi0EEEENSI_IJLi2EEEENSI_IJLi1EEEEEEENS4_IJNSI_IJLi1ELi2EEEENSI_IJLi3ELi4EEEENSI_IJLi5EEEEEEENSI_IJLi3ELi5ELi4EEEElEENS3_INS4_IJNS5_IS6_NS4_IJS8_iEEELb0EEESE_SG_EEENS4_IJSJ_SL_SK_EEESQ_SR_lEENS3_INS4_IJSA_SG_SG_EEESW_NS4_IJSN_NSI_IJLi3EEEENSI_IJLi4EEEEEEESO_lEENS_16tensor_operation12element_wise11PassThroughES15_S15_Li16ELi128ELi4ELi16ELi16ELi4ELi1ELi1ENSI_IJLi16ELi16ELi1EEEENSI_IJLi1ELi0ELi2EEEES17_Li2ELi4ELi4ELb0ELb1ELi4ELb0ELi4ENSI_IJLi0ELi2ELi4ELi5ELi6ELi1ELi3ELi7EEEELi7ELi1EEEffSS_SX_S12_S15_S15_S15_NS_13TensorAdaptorINS4_IJNSB_IS6_Lb0EEES1B_NS_23Merge_v2_magic_divisionINS4_IJiiiiEEEEEEEENS4_IJSJ_SL_NSI_IJLi2ELi3ELi4ELi5EEEEEEENS4_IJNSI_IJLi2ELi4EEEENSI_IJLi3ELi5EEEENSI_IJLi6EEEEEEENSI_IJLi0ELi1EEEES1K_EELb0EEEvPKT0_S1Q_PT1_T2_T3_T4_T5_T6_T7_T8_,"axG",@progbits,_ZN2ck32kernel_gemm_xdlops_skip_b_lds_v1INS_48GridwiseGemm_k0mk1_k0nk1_mn_xdlops_skip_b_lds_v1ILi256EfffLNS_25InMemoryDataOperationEnumE0ENS_16TensorDescriptorINS_5TupleIJNS_5EmbedINS4_IJiiEEENS4_IJiNS_17integral_constantIiLi1EEEEEELb0EEENS_7UnMergeINS4_IJiNS7_IiLi4EEEEEELb0EEENS_11PassThroughIiEEEEENS4_IJNS_8SequenceIJLi0EEEENSI_IJLi2EEEENSI_IJLi1EEEEEEENS4_IJNSI_IJLi1ELi2EEEENSI_IJLi3ELi4EEEENSI_IJLi5EEEEEEENSI_IJLi3ELi5ELi4EEEElEENS3_INS4_IJNS5_IS6_NS4_IJS8_iEEELb0EEESE_SG_EEENS4_IJSJ_SL_SK_EEESQ_SR_lEENS3_INS4_IJSA_SG_SG_EEESW_NS4_IJSN_NSI_IJLi3EEEENSI_IJLi4EEEEEEESO_lEENS_16tensor_operation12element_wise11PassThroughES15_S15_Li16ELi128ELi4ELi16ELi16ELi4ELi1ELi1ENSI_IJLi16ELi16ELi1EEEENSI_IJLi1ELi0ELi2EEEES17_Li2ELi4ELi4ELb0ELb1ELi4ELb0ELi4ENSI_IJLi0ELi2ELi4ELi5ELi6ELi1ELi3ELi7EEEELi7ELi1EEEffSS_SX_S12_S15_S15_S15_NS_13TensorAdaptorINS4_IJNSB_IS6_Lb0EEES1B_NS_23Merge_v2_magic_divisionINS4_IJiiiiEEEEEEEENS4_IJSJ_SL_NSI_IJLi2ELi3ELi4ELi5EEEEEEENS4_IJNSI_IJLi2ELi4EEEENSI_IJLi3ELi5EEEENSI_IJLi6EEEEEEENSI_IJLi0ELi1EEEES1K_EELb0EEEvPKT0_S1Q_PT1_T2_T3_T4_T5_T6_T7_T8_,comdat
	.protected	_ZN2ck32kernel_gemm_xdlops_skip_b_lds_v1INS_48GridwiseGemm_k0mk1_k0nk1_mn_xdlops_skip_b_lds_v1ILi256EfffLNS_25InMemoryDataOperationEnumE0ENS_16TensorDescriptorINS_5TupleIJNS_5EmbedINS4_IJiiEEENS4_IJiNS_17integral_constantIiLi1EEEEEELb0EEENS_7UnMergeINS4_IJiNS7_IiLi4EEEEEELb0EEENS_11PassThroughIiEEEEENS4_IJNS_8SequenceIJLi0EEEENSI_IJLi2EEEENSI_IJLi1EEEEEEENS4_IJNSI_IJLi1ELi2EEEENSI_IJLi3ELi4EEEENSI_IJLi5EEEEEEENSI_IJLi3ELi5ELi4EEEElEENS3_INS4_IJNS5_IS6_NS4_IJS8_iEEELb0EEESE_SG_EEENS4_IJSJ_SL_SK_EEESQ_SR_lEENS3_INS4_IJSA_SG_SG_EEESW_NS4_IJSN_NSI_IJLi3EEEENSI_IJLi4EEEEEEESO_lEENS_16tensor_operation12element_wise11PassThroughES15_S15_Li16ELi128ELi4ELi16ELi16ELi4ELi1ELi1ENSI_IJLi16ELi16ELi1EEEENSI_IJLi1ELi0ELi2EEEES17_Li2ELi4ELi4ELb0ELb1ELi4ELb0ELi4ENSI_IJLi0ELi2ELi4ELi5ELi6ELi1ELi3ELi7EEEELi7ELi1EEEffSS_SX_S12_S15_S15_S15_NS_13TensorAdaptorINS4_IJNSB_IS6_Lb0EEES1B_NS_23Merge_v2_magic_divisionINS4_IJiiiiEEEEEEEENS4_IJSJ_SL_NSI_IJLi2ELi3ELi4ELi5EEEEEEENS4_IJNSI_IJLi2ELi4EEEENSI_IJLi3ELi5EEEENSI_IJLi6EEEEEEENSI_IJLi0ELi1EEEES1K_EELb0EEEvPKT0_S1Q_PT1_T2_T3_T4_T5_T6_T7_T8_ ; -- Begin function _ZN2ck32kernel_gemm_xdlops_skip_b_lds_v1INS_48GridwiseGemm_k0mk1_k0nk1_mn_xdlops_skip_b_lds_v1ILi256EfffLNS_25InMemoryDataOperationEnumE0ENS_16TensorDescriptorINS_5TupleIJNS_5EmbedINS4_IJiiEEENS4_IJiNS_17integral_constantIiLi1EEEEEELb0EEENS_7UnMergeINS4_IJiNS7_IiLi4EEEEEELb0EEENS_11PassThroughIiEEEEENS4_IJNS_8SequenceIJLi0EEEENSI_IJLi2EEEENSI_IJLi1EEEEEEENS4_IJNSI_IJLi1ELi2EEEENSI_IJLi3ELi4EEEENSI_IJLi5EEEEEEENSI_IJLi3ELi5ELi4EEEElEENS3_INS4_IJNS5_IS6_NS4_IJS8_iEEELb0EEESE_SG_EEENS4_IJSJ_SL_SK_EEESQ_SR_lEENS3_INS4_IJSA_SG_SG_EEESW_NS4_IJSN_NSI_IJLi3EEEENSI_IJLi4EEEEEEESO_lEENS_16tensor_operation12element_wise11PassThroughES15_S15_Li16ELi128ELi4ELi16ELi16ELi4ELi1ELi1ENSI_IJLi16ELi16ELi1EEEENSI_IJLi1ELi0ELi2EEEES17_Li2ELi4ELi4ELb0ELb1ELi4ELb0ELi4ENSI_IJLi0ELi2ELi4ELi5ELi6ELi1ELi3ELi7EEEELi7ELi1EEEffSS_SX_S12_S15_S15_S15_NS_13TensorAdaptorINS4_IJNSB_IS6_Lb0EEES1B_NS_23Merge_v2_magic_divisionINS4_IJiiiiEEEEEEEENS4_IJSJ_SL_NSI_IJLi2ELi3ELi4ELi5EEEEEEENS4_IJNSI_IJLi2ELi4EEEENSI_IJLi3ELi5EEEENSI_IJLi6EEEEEEENSI_IJLi0ELi1EEEES1K_EELb0EEEvPKT0_S1Q_PT1_T2_T3_T4_T5_T6_T7_T8_
	.globl	_ZN2ck32kernel_gemm_xdlops_skip_b_lds_v1INS_48GridwiseGemm_k0mk1_k0nk1_mn_xdlops_skip_b_lds_v1ILi256EfffLNS_25InMemoryDataOperationEnumE0ENS_16TensorDescriptorINS_5TupleIJNS_5EmbedINS4_IJiiEEENS4_IJiNS_17integral_constantIiLi1EEEEEELb0EEENS_7UnMergeINS4_IJiNS7_IiLi4EEEEEELb0EEENS_11PassThroughIiEEEEENS4_IJNS_8SequenceIJLi0EEEENSI_IJLi2EEEENSI_IJLi1EEEEEEENS4_IJNSI_IJLi1ELi2EEEENSI_IJLi3ELi4EEEENSI_IJLi5EEEEEEENSI_IJLi3ELi5ELi4EEEElEENS3_INS4_IJNS5_IS6_NS4_IJS8_iEEELb0EEESE_SG_EEENS4_IJSJ_SL_SK_EEESQ_SR_lEENS3_INS4_IJSA_SG_SG_EEESW_NS4_IJSN_NSI_IJLi3EEEENSI_IJLi4EEEEEEESO_lEENS_16tensor_operation12element_wise11PassThroughES15_S15_Li16ELi128ELi4ELi16ELi16ELi4ELi1ELi1ENSI_IJLi16ELi16ELi1EEEENSI_IJLi1ELi0ELi2EEEES17_Li2ELi4ELi4ELb0ELb1ELi4ELb0ELi4ENSI_IJLi0ELi2ELi4ELi5ELi6ELi1ELi3ELi7EEEELi7ELi1EEEffSS_SX_S12_S15_S15_S15_NS_13TensorAdaptorINS4_IJNSB_IS6_Lb0EEES1B_NS_23Merge_v2_magic_divisionINS4_IJiiiiEEEEEEEENS4_IJSJ_SL_NSI_IJLi2ELi3ELi4ELi5EEEEEEENS4_IJNSI_IJLi2ELi4EEEENSI_IJLi3ELi5EEEENSI_IJLi6EEEEEEENSI_IJLi0ELi1EEEES1K_EELb0EEEvPKT0_S1Q_PT1_T2_T3_T4_T5_T6_T7_T8_
	.p2align	8
	.type	_ZN2ck32kernel_gemm_xdlops_skip_b_lds_v1INS_48GridwiseGemm_k0mk1_k0nk1_mn_xdlops_skip_b_lds_v1ILi256EfffLNS_25InMemoryDataOperationEnumE0ENS_16TensorDescriptorINS_5TupleIJNS_5EmbedINS4_IJiiEEENS4_IJiNS_17integral_constantIiLi1EEEEEELb0EEENS_7UnMergeINS4_IJiNS7_IiLi4EEEEEELb0EEENS_11PassThroughIiEEEEENS4_IJNS_8SequenceIJLi0EEEENSI_IJLi2EEEENSI_IJLi1EEEEEEENS4_IJNSI_IJLi1ELi2EEEENSI_IJLi3ELi4EEEENSI_IJLi5EEEEEEENSI_IJLi3ELi5ELi4EEEElEENS3_INS4_IJNS5_IS6_NS4_IJS8_iEEELb0EEESE_SG_EEENS4_IJSJ_SL_SK_EEESQ_SR_lEENS3_INS4_IJSA_SG_SG_EEESW_NS4_IJSN_NSI_IJLi3EEEENSI_IJLi4EEEEEEESO_lEENS_16tensor_operation12element_wise11PassThroughES15_S15_Li16ELi128ELi4ELi16ELi16ELi4ELi1ELi1ENSI_IJLi16ELi16ELi1EEEENSI_IJLi1ELi0ELi2EEEES17_Li2ELi4ELi4ELb0ELb1ELi4ELb0ELi4ENSI_IJLi0ELi2ELi4ELi5ELi6ELi1ELi3ELi7EEEELi7ELi1EEEffSS_SX_S12_S15_S15_S15_NS_13TensorAdaptorINS4_IJNSB_IS6_Lb0EEES1B_NS_23Merge_v2_magic_divisionINS4_IJiiiiEEEEEEEENS4_IJSJ_SL_NSI_IJLi2ELi3ELi4ELi5EEEEEEENS4_IJNSI_IJLi2ELi4EEEENSI_IJLi3ELi5EEEENSI_IJLi6EEEEEEENSI_IJLi0ELi1EEEES1K_EELb0EEEvPKT0_S1Q_PT1_T2_T3_T4_T5_T6_T7_T8_,@function
_ZN2ck32kernel_gemm_xdlops_skip_b_lds_v1INS_48GridwiseGemm_k0mk1_k0nk1_mn_xdlops_skip_b_lds_v1ILi256EfffLNS_25InMemoryDataOperationEnumE0ENS_16TensorDescriptorINS_5TupleIJNS_5EmbedINS4_IJiiEEENS4_IJiNS_17integral_constantIiLi1EEEEEELb0EEENS_7UnMergeINS4_IJiNS7_IiLi4EEEEEELb0EEENS_11PassThroughIiEEEEENS4_IJNS_8SequenceIJLi0EEEENSI_IJLi2EEEENSI_IJLi1EEEEEEENS4_IJNSI_IJLi1ELi2EEEENSI_IJLi3ELi4EEEENSI_IJLi5EEEEEEENSI_IJLi3ELi5ELi4EEEElEENS3_INS4_IJNS5_IS6_NS4_IJS8_iEEELb0EEESE_SG_EEENS4_IJSJ_SL_SK_EEESQ_SR_lEENS3_INS4_IJSA_SG_SG_EEESW_NS4_IJSN_NSI_IJLi3EEEENSI_IJLi4EEEEEEESO_lEENS_16tensor_operation12element_wise11PassThroughES15_S15_Li16ELi128ELi4ELi16ELi16ELi4ELi1ELi1ENSI_IJLi16ELi16ELi1EEEENSI_IJLi1ELi0ELi2EEEES17_Li2ELi4ELi4ELb0ELb1ELi4ELb0ELi4ENSI_IJLi0ELi2ELi4ELi5ELi6ELi1ELi3ELi7EEEELi7ELi1EEEffSS_SX_S12_S15_S15_S15_NS_13TensorAdaptorINS4_IJNSB_IS6_Lb0EEES1B_NS_23Merge_v2_magic_divisionINS4_IJiiiiEEEEEEEENS4_IJSJ_SL_NSI_IJLi2ELi3ELi4ELi5EEEEEEENS4_IJNSI_IJLi2ELi4EEEENSI_IJLi3ELi5EEEENSI_IJLi6EEEEEEENSI_IJLi0ELi1EEEES1K_EELb0EEEvPKT0_S1Q_PT1_T2_T3_T4_T5_T6_T7_T8_: ; @_ZN2ck32kernel_gemm_xdlops_skip_b_lds_v1INS_48GridwiseGemm_k0mk1_k0nk1_mn_xdlops_skip_b_lds_v1ILi256EfffLNS_25InMemoryDataOperationEnumE0ENS_16TensorDescriptorINS_5TupleIJNS_5EmbedINS4_IJiiEEENS4_IJiNS_17integral_constantIiLi1EEEEEELb0EEENS_7UnMergeINS4_IJiNS7_IiLi4EEEEEELb0EEENS_11PassThroughIiEEEEENS4_IJNS_8SequenceIJLi0EEEENSI_IJLi2EEEENSI_IJLi1EEEEEEENS4_IJNSI_IJLi1ELi2EEEENSI_IJLi3ELi4EEEENSI_IJLi5EEEEEEENSI_IJLi3ELi5ELi4EEEElEENS3_INS4_IJNS5_IS6_NS4_IJS8_iEEELb0EEESE_SG_EEENS4_IJSJ_SL_SK_EEESQ_SR_lEENS3_INS4_IJSA_SG_SG_EEESW_NS4_IJSN_NSI_IJLi3EEEENSI_IJLi4EEEEEEESO_lEENS_16tensor_operation12element_wise11PassThroughES15_S15_Li16ELi128ELi4ELi16ELi16ELi4ELi1ELi1ENSI_IJLi16ELi16ELi1EEEENSI_IJLi1ELi0ELi2EEEES17_Li2ELi4ELi4ELb0ELb1ELi4ELb0ELi4ENSI_IJLi0ELi2ELi4ELi5ELi6ELi1ELi3ELi7EEEELi7ELi1EEEffSS_SX_S12_S15_S15_S15_NS_13TensorAdaptorINS4_IJNSB_IS6_Lb0EEES1B_NS_23Merge_v2_magic_divisionINS4_IJiiiiEEEEEEEENS4_IJSJ_SL_NSI_IJLi2ELi3ELi4ELi5EEEEEEENS4_IJNSI_IJLi2ELi4EEEENSI_IJLi3ELi5EEEENSI_IJLi6EEEEEEENSI_IJLi0ELi1EEEES1K_EELb0EEEvPKT0_S1Q_PT1_T2_T3_T4_T5_T6_T7_T8_
; %bb.0:
	s_clause 0x6
	s_load_b96 s[8:10], s[0:1], 0xd8
	s_load_b96 s[16:18], s[0:1], 0xe8
	;; [unrolled: 1-line block ×3, first 2 shown]
	s_load_b32 s2, s[0:1], 0xac
	s_load_b32 s6, s[0:1], 0x20
	s_load_b64 s[4:5], s[0:1], 0x0
	s_load_b32 s11, s[0:1], 0x40
	v_lshrrev_b32_e32 v1, 4, v0
	v_and_b32_e32 v5, 15, v0
	v_lshrrev_b32_e32 v6, 1, v0
	v_dual_mov_b32 v11, 0 :: v_dual_and_b32 v0, 0xf0, v0
	s_delay_alu instid0(VALU_DEP_3) | instskip(NEXT) | instid1(VALU_DEP_3)
	v_lshlrev_b32_e32 v2, 4, v5
	v_and_b32_e32 v7, 8, v6
	v_and_or_b32 v6, 0x70, v6, v5
	s_delay_alu instid0(VALU_DEP_4) | instskip(SKIP_2) | instid1(SALU_CYCLE_1)
	v_mad_u32_u24 v0, 0x110, v5, v0
	s_wait_kmcnt 0x0
	s_mul_hi_u32 s3, s10, ttmp9
	s_add_co_i32 s3, ttmp9, s3
	s_and_b32 s5, s5, 0xffff
	s_lshr_b32 s10, s3, s18
	s_delay_alu instid0(SALU_CYCLE_1) | instskip(NEXT) | instid1(SALU_CYCLE_1)
	s_mul_hi_u32 s3, s10, s9
	s_add_co_i32 s3, s10, s3
	s_delay_alu instid0(SALU_CYCLE_1)
	s_lshr_b32 s15, s3, s17
	s_load_b32 s17, s[0:1], 0xbc
	s_mul_hi_u32 s3, s15, s8
	s_mul_i32 s7, s15, s13
	s_add_co_i32 s3, s15, s3
	s_load_b64 s[8:9], s[0:1], 0x10
	s_lshr_b32 s13, s3, s16
	s_sub_co_i32 s3, s10, s7
	s_mul_i32 s2, s13, s2
	s_mov_b32 s7, 0x31004000
	s_add_co_i32 s16, s3, s2
	s_mul_i32 s13, s13, s12
	v_lshl_or_b32 v1, s16, 4, v1
	s_mul_i32 s10, s10, s14
	s_delay_alu instid0(VALU_DEP_1)
	v_mul_lo_u32 v1, s6, v1
	s_lshl_b32 s6, s11, 2
	s_getpc_b64 s[2:3]
	s_sext_i32_i16 s3, s3
	s_add_co_u32 s2, s2, _ZN2ck53BlockwiseGemmXdlops_k0mk1_k0nk1_m0n0m1n1m2m3m4n2_v1r1ILi256EffKNS_16TensorDescriptorINS_5TupleIJNS_5EmbedINS2_IJNS_17integral_constantIiLi4EEENS4_IiLi16EEES5_EEENS2_IJNS4_IiLi68EEES5_NS4_IiLi1EEEEEELb0EEEEEENS2_IJNS_8SequenceIJLi0EEEEEEENS2_IJNSD_IJLi1ELi2ELi3EEEEEEESG_NS4_IlLl268EEEEEKNS1_INS2_IJNS_7UnMergeINS2_IJS9_S9_NS4_IiLi2EEES9_S9_S9_S9_S5_EEELb0EEEEEESF_NS2_IJNSD_IJLi1ELi2ELi3ELi4ELi5ELi6ELi7ELi8EEEEEEESQ_NS4_IlLl8EEEEELi16ELi128ELi4ELi16ELi16ELi1ELi1ELi4EE6MWavesE@rel32@lo+8
	s_add_co_ci_u32 s3, s3, _ZN2ck53BlockwiseGemmXdlops_k0mk1_k0nk1_m0n0m1n1m2m3m4n2_v1r1ILi256EffKNS_16TensorDescriptorINS_5TupleIJNS_5EmbedINS2_IJNS_17integral_constantIiLi4EEENS4_IiLi16EEES5_EEENS2_IJNS4_IiLi68EEES5_NS4_IiLi1EEEEEELb0EEEEEENS2_IJNS_8SequenceIJLi0EEEEEEENS2_IJNSD_IJLi1ELi2ELi3EEEEEEESG_NS4_IlLl268EEEEEKNS1_INS2_IJNS_7UnMergeINS2_IJS9_S9_NS4_IiLi2EEES9_S9_S9_S9_S5_EEELb0EEEEEESF_NS2_IJNSD_IJLi1ELi2ELi3ELi4ELi5ELi6ELi7ELi8EEEEEEESQ_NS4_IlLl8EEEEELi16ELi128ELi4ELi16ELi16ELi1ELi1ELi4EE6MWavesE@rel32@hi+16
	s_mov_b32 s11, s7
	s_delay_alu instid0(VALU_DEP_1)
	v_lshl_add_u32 v1, v1, 2, v2
	buffer_load_b128 v[1:4], v1, s[4:7], null offen
	s_load_b32 s4, s[2:3], 0x0
	s_getpc_b64 s[2:3]
	s_sext_i32_i16 s3, s3
	s_add_co_u32 s2, s2, _ZN2ck53BlockwiseGemmXdlops_k0mk1_k0nk1_m0n0m1n1m2m3m4n2_v1r1ILi256EffKNS_16TensorDescriptorINS_5TupleIJNS_5EmbedINS2_IJNS_17integral_constantIiLi4EEENS4_IiLi16EEES5_EEENS2_IJNS4_IiLi68EEES5_NS4_IiLi1EEEEEELb0EEEEEENS2_IJNS_8SequenceIJLi0EEEEEEENS2_IJNSD_IJLi1ELi2ELi3EEEEEEESG_NS4_IlLl268EEEEEKNS1_INS2_IJNS_7UnMergeINS2_IJS9_S9_NS4_IiLi2EEES9_S9_S9_S9_S5_EEELb0EEEEEESF_NS2_IJNSD_IJLi1ELi2ELi3ELi4ELi5ELi6ELi7ELi8EEEEEEESQ_NS4_IlLl8EEEEELi16ELi128ELi4ELi16ELi16ELi1ELi1ELi4EE6NWavesE@rel32@lo+8
	s_add_co_ci_u32 s3, s3, _ZN2ck53BlockwiseGemmXdlops_k0mk1_k0nk1_m0n0m1n1m2m3m4n2_v1r1ILi256EffKNS_16TensorDescriptorINS_5TupleIJNS_5EmbedINS2_IJNS_17integral_constantIiLi4EEENS4_IiLi16EEES5_EEENS2_IJNS4_IiLi68EEES5_NS4_IiLi1EEEEEELb0EEEEEENS2_IJNS_8SequenceIJLi0EEEEEEENS2_IJNSD_IJLi1ELi2ELi3EEEEEEESG_NS4_IlLl268EEEEEKNS1_INS2_IJNS_7UnMergeINS2_IJS9_S9_NS4_IiLi2EEES9_S9_S9_S9_S5_EEELb0EEEEEESF_NS2_IJNSD_IJLi1ELi2ELi3ELi4ELi5ELi6ELi7ELi8EEEEEEESQ_NS4_IlLl8EEEEELi16ELi128ELi4ELi16ELi16ELi1ELi1ELi4EE6NWavesE@rel32@hi+16
	s_load_b32 s5, s[0:1], 0x80
	s_load_b32 s2, s[2:3], 0x0
	s_sub_co_i32 s3, s15, s13
	s_load_b32 s0, s[0:1], 0x98
	s_wait_kmcnt 0x0
	s_mul_i32 s3, s3, s17
	s_and_b32 s9, s9, 0xffff
	s_mul_i32 s4, s4, s16
	s_delay_alu instid0(SALU_CYCLE_1)
	v_lshl_or_b32 v7, s4, 4, v7
	s_sub_co_i32 s4, ttmp9, s10
	s_wait_alu 0xfffe
	s_add_co_i32 s4, s4, s3
	s_lshl_b32 s10, s0, 2
	v_mul_lo_u32 v7, v7, s5
	s_wait_alu 0xfffe
	s_and_b32 s1, s4, 0x1ffffff
	s_delay_alu instid0(SALU_CYCLE_1) | instskip(NEXT) | instid1(SALU_CYCLE_1)
	s_mul_i32 s2, s2, s1
	s_lshl_b32 s1, s2, 4
	s_delay_alu instid0(VALU_DEP_1) | instid1(SALU_CYCLE_1)
	v_add3_u32 v6, v6, v7, s1
	s_delay_alu instid0(VALU_DEP_1) | instskip(SKIP_1) | instid1(VALU_DEP_2)
	v_add_nc_u32_e32 v7, s5, v6
	v_lshlrev_b32_e32 v6, 2, v6
	v_add_nc_u32_e32 v8, s5, v7
	v_lshlrev_b32_e32 v7, 2, v7
	s_delay_alu instid0(VALU_DEP_2) | instskip(SKIP_1) | instid1(VALU_DEP_2)
	v_add_nc_u32_e32 v9, s5, v8
	v_lshlrev_b32_e32 v8, 2, v8
	v_add_nc_u32_e32 v10, s5, v9
	v_lshlrev_b32_e32 v9, 2, v9
	s_delay_alu instid0(VALU_DEP_2) | instskip(SKIP_1) | instid1(VALU_DEP_2)
	v_add_nc_u32_e32 v5, s5, v10
	v_lshlrev_b32_e32 v10, 2, v10
	v_add_nc_u32_e32 v12, s5, v5
	v_lshlrev_b32_e32 v5, 2, v5
	s_delay_alu instid0(VALU_DEP_2)
	v_lshlrev_b32_e32 v13, 2, v12
	v_add_lshl_u32 v12, v12, s5, 2
	s_wait_loadcnt 0x0
	ds_store_b128 v0, v[1:4]
	s_wait_dscnt 0x0
	s_barrier_signal -1
	s_barrier_wait -1
	s_clause 0x7
	buffer_store_b32 v11, v6, s[8:11], null offen
	buffer_store_b32 v11, v7, s[8:11], null offen
	;; [unrolled: 1-line block ×8, first 2 shown]
	s_endpgm
	.section	.rodata,"a",@progbits
	.p2align	6, 0x0
	.amdhsa_kernel _ZN2ck32kernel_gemm_xdlops_skip_b_lds_v1INS_48GridwiseGemm_k0mk1_k0nk1_mn_xdlops_skip_b_lds_v1ILi256EfffLNS_25InMemoryDataOperationEnumE0ENS_16TensorDescriptorINS_5TupleIJNS_5EmbedINS4_IJiiEEENS4_IJiNS_17integral_constantIiLi1EEEEEELb0EEENS_7UnMergeINS4_IJiNS7_IiLi4EEEEEELb0EEENS_11PassThroughIiEEEEENS4_IJNS_8SequenceIJLi0EEEENSI_IJLi2EEEENSI_IJLi1EEEEEEENS4_IJNSI_IJLi1ELi2EEEENSI_IJLi3ELi4EEEENSI_IJLi5EEEEEEENSI_IJLi3ELi5ELi4EEEElEENS3_INS4_IJNS5_IS6_NS4_IJS8_iEEELb0EEESE_SG_EEENS4_IJSJ_SL_SK_EEESQ_SR_lEENS3_INS4_IJSA_SG_SG_EEESW_NS4_IJSN_NSI_IJLi3EEEENSI_IJLi4EEEEEEESO_lEENS_16tensor_operation12element_wise11PassThroughES15_S15_Li16ELi128ELi4ELi16ELi16ELi4ELi1ELi1ENSI_IJLi16ELi16ELi1EEEENSI_IJLi1ELi0ELi2EEEES17_Li2ELi4ELi4ELb0ELb1ELi4ELb0ELi4ENSI_IJLi0ELi2ELi4ELi5ELi6ELi1ELi3ELi7EEEELi7ELi1EEEffSS_SX_S12_S15_S15_S15_NS_13TensorAdaptorINS4_IJNSB_IS6_Lb0EEES1B_NS_23Merge_v2_magic_divisionINS4_IJiiiiEEEEEEEENS4_IJSJ_SL_NSI_IJLi2ELi3ELi4ELi5EEEEEEENS4_IJNSI_IJLi2ELi4EEEENSI_IJLi3ELi5EEEENSI_IJLi6EEEEEEENSI_IJLi0ELi1EEEES1K_EELb0EEEvPKT0_S1Q_PT1_T2_T3_T4_T5_T6_T7_T8_
		.amdhsa_group_segment_fixed_size 1072
		.amdhsa_private_segment_fixed_size 0
		.amdhsa_kernarg_size 252
		.amdhsa_user_sgpr_count 2
		.amdhsa_user_sgpr_dispatch_ptr 0
		.amdhsa_user_sgpr_queue_ptr 0
		.amdhsa_user_sgpr_kernarg_segment_ptr 1
		.amdhsa_user_sgpr_dispatch_id 0
		.amdhsa_user_sgpr_private_segment_size 0
		.amdhsa_wavefront_size32 1
		.amdhsa_uses_dynamic_stack 0
		.amdhsa_enable_private_segment 0
		.amdhsa_system_sgpr_workgroup_id_x 1
		.amdhsa_system_sgpr_workgroup_id_y 0
		.amdhsa_system_sgpr_workgroup_id_z 0
		.amdhsa_system_sgpr_workgroup_info 0
		.amdhsa_system_vgpr_workitem_id 0
		.amdhsa_next_free_vgpr 14
		.amdhsa_next_free_sgpr 19
		.amdhsa_reserve_vcc 0
		.amdhsa_float_round_mode_32 0
		.amdhsa_float_round_mode_16_64 0
		.amdhsa_float_denorm_mode_32 3
		.amdhsa_float_denorm_mode_16_64 3
		.amdhsa_fp16_overflow 0
		.amdhsa_workgroup_processor_mode 1
		.amdhsa_memory_ordered 1
		.amdhsa_forward_progress 1
		.amdhsa_inst_pref_size 6
		.amdhsa_round_robin_scheduling 0
		.amdhsa_exception_fp_ieee_invalid_op 0
		.amdhsa_exception_fp_denorm_src 0
		.amdhsa_exception_fp_ieee_div_zero 0
		.amdhsa_exception_fp_ieee_overflow 0
		.amdhsa_exception_fp_ieee_underflow 0
		.amdhsa_exception_fp_ieee_inexact 0
		.amdhsa_exception_int_div_zero 0
	.end_amdhsa_kernel
	.section	.text._ZN2ck32kernel_gemm_xdlops_skip_b_lds_v1INS_48GridwiseGemm_k0mk1_k0nk1_mn_xdlops_skip_b_lds_v1ILi256EfffLNS_25InMemoryDataOperationEnumE0ENS_16TensorDescriptorINS_5TupleIJNS_5EmbedINS4_IJiiEEENS4_IJiNS_17integral_constantIiLi1EEEEEELb0EEENS_7UnMergeINS4_IJiNS7_IiLi4EEEEEELb0EEENS_11PassThroughIiEEEEENS4_IJNS_8SequenceIJLi0EEEENSI_IJLi2EEEENSI_IJLi1EEEEEEENS4_IJNSI_IJLi1ELi2EEEENSI_IJLi3ELi4EEEENSI_IJLi5EEEEEEENSI_IJLi3ELi5ELi4EEEElEENS3_INS4_IJNS5_IS6_NS4_IJS8_iEEELb0EEESE_SG_EEENS4_IJSJ_SL_SK_EEESQ_SR_lEENS3_INS4_IJSA_SG_SG_EEESW_NS4_IJSN_NSI_IJLi3EEEENSI_IJLi4EEEEEEESO_lEENS_16tensor_operation12element_wise11PassThroughES15_S15_Li16ELi128ELi4ELi16ELi16ELi4ELi1ELi1ENSI_IJLi16ELi16ELi1EEEENSI_IJLi1ELi0ELi2EEEES17_Li2ELi4ELi4ELb0ELb1ELi4ELb0ELi4ENSI_IJLi0ELi2ELi4ELi5ELi6ELi1ELi3ELi7EEEELi7ELi1EEEffSS_SX_S12_S15_S15_S15_NS_13TensorAdaptorINS4_IJNSB_IS6_Lb0EEES1B_NS_23Merge_v2_magic_divisionINS4_IJiiiiEEEEEEEENS4_IJSJ_SL_NSI_IJLi2ELi3ELi4ELi5EEEEEEENS4_IJNSI_IJLi2ELi4EEEENSI_IJLi3ELi5EEEENSI_IJLi6EEEEEEENSI_IJLi0ELi1EEEES1K_EELb0EEEvPKT0_S1Q_PT1_T2_T3_T4_T5_T6_T7_T8_,"axG",@progbits,_ZN2ck32kernel_gemm_xdlops_skip_b_lds_v1INS_48GridwiseGemm_k0mk1_k0nk1_mn_xdlops_skip_b_lds_v1ILi256EfffLNS_25InMemoryDataOperationEnumE0ENS_16TensorDescriptorINS_5TupleIJNS_5EmbedINS4_IJiiEEENS4_IJiNS_17integral_constantIiLi1EEEEEELb0EEENS_7UnMergeINS4_IJiNS7_IiLi4EEEEEELb0EEENS_11PassThroughIiEEEEENS4_IJNS_8SequenceIJLi0EEEENSI_IJLi2EEEENSI_IJLi1EEEEEEENS4_IJNSI_IJLi1ELi2EEEENSI_IJLi3ELi4EEEENSI_IJLi5EEEEEEENSI_IJLi3ELi5ELi4EEEElEENS3_INS4_IJNS5_IS6_NS4_IJS8_iEEELb0EEESE_SG_EEENS4_IJSJ_SL_SK_EEESQ_SR_lEENS3_INS4_IJSA_SG_SG_EEESW_NS4_IJSN_NSI_IJLi3EEEENSI_IJLi4EEEEEEESO_lEENS_16tensor_operation12element_wise11PassThroughES15_S15_Li16ELi128ELi4ELi16ELi16ELi4ELi1ELi1ENSI_IJLi16ELi16ELi1EEEENSI_IJLi1ELi0ELi2EEEES17_Li2ELi4ELi4ELb0ELb1ELi4ELb0ELi4ENSI_IJLi0ELi2ELi4ELi5ELi6ELi1ELi3ELi7EEEELi7ELi1EEEffSS_SX_S12_S15_S15_S15_NS_13TensorAdaptorINS4_IJNSB_IS6_Lb0EEES1B_NS_23Merge_v2_magic_divisionINS4_IJiiiiEEEEEEEENS4_IJSJ_SL_NSI_IJLi2ELi3ELi4ELi5EEEEEEENS4_IJNSI_IJLi2ELi4EEEENSI_IJLi3ELi5EEEENSI_IJLi6EEEEEEENSI_IJLi0ELi1EEEES1K_EELb0EEEvPKT0_S1Q_PT1_T2_T3_T4_T5_T6_T7_T8_,comdat
.Lfunc_end4:
	.size	_ZN2ck32kernel_gemm_xdlops_skip_b_lds_v1INS_48GridwiseGemm_k0mk1_k0nk1_mn_xdlops_skip_b_lds_v1ILi256EfffLNS_25InMemoryDataOperationEnumE0ENS_16TensorDescriptorINS_5TupleIJNS_5EmbedINS4_IJiiEEENS4_IJiNS_17integral_constantIiLi1EEEEEELb0EEENS_7UnMergeINS4_IJiNS7_IiLi4EEEEEELb0EEENS_11PassThroughIiEEEEENS4_IJNS_8SequenceIJLi0EEEENSI_IJLi2EEEENSI_IJLi1EEEEEEENS4_IJNSI_IJLi1ELi2EEEENSI_IJLi3ELi4EEEENSI_IJLi5EEEEEEENSI_IJLi3ELi5ELi4EEEElEENS3_INS4_IJNS5_IS6_NS4_IJS8_iEEELb0EEESE_SG_EEENS4_IJSJ_SL_SK_EEESQ_SR_lEENS3_INS4_IJSA_SG_SG_EEESW_NS4_IJSN_NSI_IJLi3EEEENSI_IJLi4EEEEEEESO_lEENS_16tensor_operation12element_wise11PassThroughES15_S15_Li16ELi128ELi4ELi16ELi16ELi4ELi1ELi1ENSI_IJLi16ELi16ELi1EEEENSI_IJLi1ELi0ELi2EEEES17_Li2ELi4ELi4ELb0ELb1ELi4ELb0ELi4ENSI_IJLi0ELi2ELi4ELi5ELi6ELi1ELi3ELi7EEEELi7ELi1EEEffSS_SX_S12_S15_S15_S15_NS_13TensorAdaptorINS4_IJNSB_IS6_Lb0EEES1B_NS_23Merge_v2_magic_divisionINS4_IJiiiiEEEEEEEENS4_IJSJ_SL_NSI_IJLi2ELi3ELi4ELi5EEEEEEENS4_IJNSI_IJLi2ELi4EEEENSI_IJLi3ELi5EEEENSI_IJLi6EEEEEEENSI_IJLi0ELi1EEEES1K_EELb0EEEvPKT0_S1Q_PT1_T2_T3_T4_T5_T6_T7_T8_, .Lfunc_end4-_ZN2ck32kernel_gemm_xdlops_skip_b_lds_v1INS_48GridwiseGemm_k0mk1_k0nk1_mn_xdlops_skip_b_lds_v1ILi256EfffLNS_25InMemoryDataOperationEnumE0ENS_16TensorDescriptorINS_5TupleIJNS_5EmbedINS4_IJiiEEENS4_IJiNS_17integral_constantIiLi1EEEEEELb0EEENS_7UnMergeINS4_IJiNS7_IiLi4EEEEEELb0EEENS_11PassThroughIiEEEEENS4_IJNS_8SequenceIJLi0EEEENSI_IJLi2EEEENSI_IJLi1EEEEEEENS4_IJNSI_IJLi1ELi2EEEENSI_IJLi3ELi4EEEENSI_IJLi5EEEEEEENSI_IJLi3ELi5ELi4EEEElEENS3_INS4_IJNS5_IS6_NS4_IJS8_iEEELb0EEESE_SG_EEENS4_IJSJ_SL_SK_EEESQ_SR_lEENS3_INS4_IJSA_SG_SG_EEESW_NS4_IJSN_NSI_IJLi3EEEENSI_IJLi4EEEEEEESO_lEENS_16tensor_operation12element_wise11PassThroughES15_S15_Li16ELi128ELi4ELi16ELi16ELi4ELi1ELi1ENSI_IJLi16ELi16ELi1EEEENSI_IJLi1ELi0ELi2EEEES17_Li2ELi4ELi4ELb0ELb1ELi4ELb0ELi4ENSI_IJLi0ELi2ELi4ELi5ELi6ELi1ELi3ELi7EEEELi7ELi1EEEffSS_SX_S12_S15_S15_S15_NS_13TensorAdaptorINS4_IJNSB_IS6_Lb0EEES1B_NS_23Merge_v2_magic_divisionINS4_IJiiiiEEEEEEEENS4_IJSJ_SL_NSI_IJLi2ELi3ELi4ELi5EEEEEEENS4_IJNSI_IJLi2ELi4EEEENSI_IJLi3ELi5EEEENSI_IJLi6EEEEEEENSI_IJLi0ELi1EEEES1K_EELb0EEEvPKT0_S1Q_PT1_T2_T3_T4_T5_T6_T7_T8_
                                        ; -- End function
	.set _ZN2ck32kernel_gemm_xdlops_skip_b_lds_v1INS_48GridwiseGemm_k0mk1_k0nk1_mn_xdlops_skip_b_lds_v1ILi256EfffLNS_25InMemoryDataOperationEnumE0ENS_16TensorDescriptorINS_5TupleIJNS_5EmbedINS4_IJiiEEENS4_IJiNS_17integral_constantIiLi1EEEEEELb0EEENS_7UnMergeINS4_IJiNS7_IiLi4EEEEEELb0EEENS_11PassThroughIiEEEEENS4_IJNS_8SequenceIJLi0EEEENSI_IJLi2EEEENSI_IJLi1EEEEEEENS4_IJNSI_IJLi1ELi2EEEENSI_IJLi3ELi4EEEENSI_IJLi5EEEEEEENSI_IJLi3ELi5ELi4EEEElEENS3_INS4_IJNS5_IS6_NS4_IJS8_iEEELb0EEESE_SG_EEENS4_IJSJ_SL_SK_EEESQ_SR_lEENS3_INS4_IJSA_SG_SG_EEESW_NS4_IJSN_NSI_IJLi3EEEENSI_IJLi4EEEEEEESO_lEENS_16tensor_operation12element_wise11PassThroughES15_S15_Li16ELi128ELi4ELi16ELi16ELi4ELi1ELi1ENSI_IJLi16ELi16ELi1EEEENSI_IJLi1ELi0ELi2EEEES17_Li2ELi4ELi4ELb0ELb1ELi4ELb0ELi4ENSI_IJLi0ELi2ELi4ELi5ELi6ELi1ELi3ELi7EEEELi7ELi1EEEffSS_SX_S12_S15_S15_S15_NS_13TensorAdaptorINS4_IJNSB_IS6_Lb0EEES1B_NS_23Merge_v2_magic_divisionINS4_IJiiiiEEEEEEEENS4_IJSJ_SL_NSI_IJLi2ELi3ELi4ELi5EEEEEEENS4_IJNSI_IJLi2ELi4EEEENSI_IJLi3ELi5EEEENSI_IJLi6EEEEEEENSI_IJLi0ELi1EEEES1K_EELb0EEEvPKT0_S1Q_PT1_T2_T3_T4_T5_T6_T7_T8_.num_vgpr, 14
	.set _ZN2ck32kernel_gemm_xdlops_skip_b_lds_v1INS_48GridwiseGemm_k0mk1_k0nk1_mn_xdlops_skip_b_lds_v1ILi256EfffLNS_25InMemoryDataOperationEnumE0ENS_16TensorDescriptorINS_5TupleIJNS_5EmbedINS4_IJiiEEENS4_IJiNS_17integral_constantIiLi1EEEEEELb0EEENS_7UnMergeINS4_IJiNS7_IiLi4EEEEEELb0EEENS_11PassThroughIiEEEEENS4_IJNS_8SequenceIJLi0EEEENSI_IJLi2EEEENSI_IJLi1EEEEEEENS4_IJNSI_IJLi1ELi2EEEENSI_IJLi3ELi4EEEENSI_IJLi5EEEEEEENSI_IJLi3ELi5ELi4EEEElEENS3_INS4_IJNS5_IS6_NS4_IJS8_iEEELb0EEESE_SG_EEENS4_IJSJ_SL_SK_EEESQ_SR_lEENS3_INS4_IJSA_SG_SG_EEESW_NS4_IJSN_NSI_IJLi3EEEENSI_IJLi4EEEEEEESO_lEENS_16tensor_operation12element_wise11PassThroughES15_S15_Li16ELi128ELi4ELi16ELi16ELi4ELi1ELi1ENSI_IJLi16ELi16ELi1EEEENSI_IJLi1ELi0ELi2EEEES17_Li2ELi4ELi4ELb0ELb1ELi4ELb0ELi4ENSI_IJLi0ELi2ELi4ELi5ELi6ELi1ELi3ELi7EEEELi7ELi1EEEffSS_SX_S12_S15_S15_S15_NS_13TensorAdaptorINS4_IJNSB_IS6_Lb0EEES1B_NS_23Merge_v2_magic_divisionINS4_IJiiiiEEEEEEEENS4_IJSJ_SL_NSI_IJLi2ELi3ELi4ELi5EEEEEEENS4_IJNSI_IJLi2ELi4EEEENSI_IJLi3ELi5EEEENSI_IJLi6EEEEEEENSI_IJLi0ELi1EEEES1K_EELb0EEEvPKT0_S1Q_PT1_T2_T3_T4_T5_T6_T7_T8_.num_agpr, 0
	.set _ZN2ck32kernel_gemm_xdlops_skip_b_lds_v1INS_48GridwiseGemm_k0mk1_k0nk1_mn_xdlops_skip_b_lds_v1ILi256EfffLNS_25InMemoryDataOperationEnumE0ENS_16TensorDescriptorINS_5TupleIJNS_5EmbedINS4_IJiiEEENS4_IJiNS_17integral_constantIiLi1EEEEEELb0EEENS_7UnMergeINS4_IJiNS7_IiLi4EEEEEELb0EEENS_11PassThroughIiEEEEENS4_IJNS_8SequenceIJLi0EEEENSI_IJLi2EEEENSI_IJLi1EEEEEEENS4_IJNSI_IJLi1ELi2EEEENSI_IJLi3ELi4EEEENSI_IJLi5EEEEEEENSI_IJLi3ELi5ELi4EEEElEENS3_INS4_IJNS5_IS6_NS4_IJS8_iEEELb0EEESE_SG_EEENS4_IJSJ_SL_SK_EEESQ_SR_lEENS3_INS4_IJSA_SG_SG_EEESW_NS4_IJSN_NSI_IJLi3EEEENSI_IJLi4EEEEEEESO_lEENS_16tensor_operation12element_wise11PassThroughES15_S15_Li16ELi128ELi4ELi16ELi16ELi4ELi1ELi1ENSI_IJLi16ELi16ELi1EEEENSI_IJLi1ELi0ELi2EEEES17_Li2ELi4ELi4ELb0ELb1ELi4ELb0ELi4ENSI_IJLi0ELi2ELi4ELi5ELi6ELi1ELi3ELi7EEEELi7ELi1EEEffSS_SX_S12_S15_S15_S15_NS_13TensorAdaptorINS4_IJNSB_IS6_Lb0EEES1B_NS_23Merge_v2_magic_divisionINS4_IJiiiiEEEEEEEENS4_IJSJ_SL_NSI_IJLi2ELi3ELi4ELi5EEEEEEENS4_IJNSI_IJLi2ELi4EEEENSI_IJLi3ELi5EEEENSI_IJLi6EEEEEEENSI_IJLi0ELi1EEEES1K_EELb0EEEvPKT0_S1Q_PT1_T2_T3_T4_T5_T6_T7_T8_.numbered_sgpr, 19
	.set _ZN2ck32kernel_gemm_xdlops_skip_b_lds_v1INS_48GridwiseGemm_k0mk1_k0nk1_mn_xdlops_skip_b_lds_v1ILi256EfffLNS_25InMemoryDataOperationEnumE0ENS_16TensorDescriptorINS_5TupleIJNS_5EmbedINS4_IJiiEEENS4_IJiNS_17integral_constantIiLi1EEEEEELb0EEENS_7UnMergeINS4_IJiNS7_IiLi4EEEEEELb0EEENS_11PassThroughIiEEEEENS4_IJNS_8SequenceIJLi0EEEENSI_IJLi2EEEENSI_IJLi1EEEEEEENS4_IJNSI_IJLi1ELi2EEEENSI_IJLi3ELi4EEEENSI_IJLi5EEEEEEENSI_IJLi3ELi5ELi4EEEElEENS3_INS4_IJNS5_IS6_NS4_IJS8_iEEELb0EEESE_SG_EEENS4_IJSJ_SL_SK_EEESQ_SR_lEENS3_INS4_IJSA_SG_SG_EEESW_NS4_IJSN_NSI_IJLi3EEEENSI_IJLi4EEEEEEESO_lEENS_16tensor_operation12element_wise11PassThroughES15_S15_Li16ELi128ELi4ELi16ELi16ELi4ELi1ELi1ENSI_IJLi16ELi16ELi1EEEENSI_IJLi1ELi0ELi2EEEES17_Li2ELi4ELi4ELb0ELb1ELi4ELb0ELi4ENSI_IJLi0ELi2ELi4ELi5ELi6ELi1ELi3ELi7EEEELi7ELi1EEEffSS_SX_S12_S15_S15_S15_NS_13TensorAdaptorINS4_IJNSB_IS6_Lb0EEES1B_NS_23Merge_v2_magic_divisionINS4_IJiiiiEEEEEEEENS4_IJSJ_SL_NSI_IJLi2ELi3ELi4ELi5EEEEEEENS4_IJNSI_IJLi2ELi4EEEENSI_IJLi3ELi5EEEENSI_IJLi6EEEEEEENSI_IJLi0ELi1EEEES1K_EELb0EEEvPKT0_S1Q_PT1_T2_T3_T4_T5_T6_T7_T8_.num_named_barrier, 0
	.set _ZN2ck32kernel_gemm_xdlops_skip_b_lds_v1INS_48GridwiseGemm_k0mk1_k0nk1_mn_xdlops_skip_b_lds_v1ILi256EfffLNS_25InMemoryDataOperationEnumE0ENS_16TensorDescriptorINS_5TupleIJNS_5EmbedINS4_IJiiEEENS4_IJiNS_17integral_constantIiLi1EEEEEELb0EEENS_7UnMergeINS4_IJiNS7_IiLi4EEEEEELb0EEENS_11PassThroughIiEEEEENS4_IJNS_8SequenceIJLi0EEEENSI_IJLi2EEEENSI_IJLi1EEEEEEENS4_IJNSI_IJLi1ELi2EEEENSI_IJLi3ELi4EEEENSI_IJLi5EEEEEEENSI_IJLi3ELi5ELi4EEEElEENS3_INS4_IJNS5_IS6_NS4_IJS8_iEEELb0EEESE_SG_EEENS4_IJSJ_SL_SK_EEESQ_SR_lEENS3_INS4_IJSA_SG_SG_EEESW_NS4_IJSN_NSI_IJLi3EEEENSI_IJLi4EEEEEEESO_lEENS_16tensor_operation12element_wise11PassThroughES15_S15_Li16ELi128ELi4ELi16ELi16ELi4ELi1ELi1ENSI_IJLi16ELi16ELi1EEEENSI_IJLi1ELi0ELi2EEEES17_Li2ELi4ELi4ELb0ELb1ELi4ELb0ELi4ENSI_IJLi0ELi2ELi4ELi5ELi6ELi1ELi3ELi7EEEELi7ELi1EEEffSS_SX_S12_S15_S15_S15_NS_13TensorAdaptorINS4_IJNSB_IS6_Lb0EEES1B_NS_23Merge_v2_magic_divisionINS4_IJiiiiEEEEEEEENS4_IJSJ_SL_NSI_IJLi2ELi3ELi4ELi5EEEEEEENS4_IJNSI_IJLi2ELi4EEEENSI_IJLi3ELi5EEEENSI_IJLi6EEEEEEENSI_IJLi0ELi1EEEES1K_EELb0EEEvPKT0_S1Q_PT1_T2_T3_T4_T5_T6_T7_T8_.private_seg_size, 0
	.set _ZN2ck32kernel_gemm_xdlops_skip_b_lds_v1INS_48GridwiseGemm_k0mk1_k0nk1_mn_xdlops_skip_b_lds_v1ILi256EfffLNS_25InMemoryDataOperationEnumE0ENS_16TensorDescriptorINS_5TupleIJNS_5EmbedINS4_IJiiEEENS4_IJiNS_17integral_constantIiLi1EEEEEELb0EEENS_7UnMergeINS4_IJiNS7_IiLi4EEEEEELb0EEENS_11PassThroughIiEEEEENS4_IJNS_8SequenceIJLi0EEEENSI_IJLi2EEEENSI_IJLi1EEEEEEENS4_IJNSI_IJLi1ELi2EEEENSI_IJLi3ELi4EEEENSI_IJLi5EEEEEEENSI_IJLi3ELi5ELi4EEEElEENS3_INS4_IJNS5_IS6_NS4_IJS8_iEEELb0EEESE_SG_EEENS4_IJSJ_SL_SK_EEESQ_SR_lEENS3_INS4_IJSA_SG_SG_EEESW_NS4_IJSN_NSI_IJLi3EEEENSI_IJLi4EEEEEEESO_lEENS_16tensor_operation12element_wise11PassThroughES15_S15_Li16ELi128ELi4ELi16ELi16ELi4ELi1ELi1ENSI_IJLi16ELi16ELi1EEEENSI_IJLi1ELi0ELi2EEEES17_Li2ELi4ELi4ELb0ELb1ELi4ELb0ELi4ENSI_IJLi0ELi2ELi4ELi5ELi6ELi1ELi3ELi7EEEELi7ELi1EEEffSS_SX_S12_S15_S15_S15_NS_13TensorAdaptorINS4_IJNSB_IS6_Lb0EEES1B_NS_23Merge_v2_magic_divisionINS4_IJiiiiEEEEEEEENS4_IJSJ_SL_NSI_IJLi2ELi3ELi4ELi5EEEEEEENS4_IJNSI_IJLi2ELi4EEEENSI_IJLi3ELi5EEEENSI_IJLi6EEEEEEENSI_IJLi0ELi1EEEES1K_EELb0EEEvPKT0_S1Q_PT1_T2_T3_T4_T5_T6_T7_T8_.uses_vcc, 0
	.set _ZN2ck32kernel_gemm_xdlops_skip_b_lds_v1INS_48GridwiseGemm_k0mk1_k0nk1_mn_xdlops_skip_b_lds_v1ILi256EfffLNS_25InMemoryDataOperationEnumE0ENS_16TensorDescriptorINS_5TupleIJNS_5EmbedINS4_IJiiEEENS4_IJiNS_17integral_constantIiLi1EEEEEELb0EEENS_7UnMergeINS4_IJiNS7_IiLi4EEEEEELb0EEENS_11PassThroughIiEEEEENS4_IJNS_8SequenceIJLi0EEEENSI_IJLi2EEEENSI_IJLi1EEEEEEENS4_IJNSI_IJLi1ELi2EEEENSI_IJLi3ELi4EEEENSI_IJLi5EEEEEEENSI_IJLi3ELi5ELi4EEEElEENS3_INS4_IJNS5_IS6_NS4_IJS8_iEEELb0EEESE_SG_EEENS4_IJSJ_SL_SK_EEESQ_SR_lEENS3_INS4_IJSA_SG_SG_EEESW_NS4_IJSN_NSI_IJLi3EEEENSI_IJLi4EEEEEEESO_lEENS_16tensor_operation12element_wise11PassThroughES15_S15_Li16ELi128ELi4ELi16ELi16ELi4ELi1ELi1ENSI_IJLi16ELi16ELi1EEEENSI_IJLi1ELi0ELi2EEEES17_Li2ELi4ELi4ELb0ELb1ELi4ELb0ELi4ENSI_IJLi0ELi2ELi4ELi5ELi6ELi1ELi3ELi7EEEELi7ELi1EEEffSS_SX_S12_S15_S15_S15_NS_13TensorAdaptorINS4_IJNSB_IS6_Lb0EEES1B_NS_23Merge_v2_magic_divisionINS4_IJiiiiEEEEEEEENS4_IJSJ_SL_NSI_IJLi2ELi3ELi4ELi5EEEEEEENS4_IJNSI_IJLi2ELi4EEEENSI_IJLi3ELi5EEEENSI_IJLi6EEEEEEENSI_IJLi0ELi1EEEES1K_EELb0EEEvPKT0_S1Q_PT1_T2_T3_T4_T5_T6_T7_T8_.uses_flat_scratch, 0
	.set _ZN2ck32kernel_gemm_xdlops_skip_b_lds_v1INS_48GridwiseGemm_k0mk1_k0nk1_mn_xdlops_skip_b_lds_v1ILi256EfffLNS_25InMemoryDataOperationEnumE0ENS_16TensorDescriptorINS_5TupleIJNS_5EmbedINS4_IJiiEEENS4_IJiNS_17integral_constantIiLi1EEEEEELb0EEENS_7UnMergeINS4_IJiNS7_IiLi4EEEEEELb0EEENS_11PassThroughIiEEEEENS4_IJNS_8SequenceIJLi0EEEENSI_IJLi2EEEENSI_IJLi1EEEEEEENS4_IJNSI_IJLi1ELi2EEEENSI_IJLi3ELi4EEEENSI_IJLi5EEEEEEENSI_IJLi3ELi5ELi4EEEElEENS3_INS4_IJNS5_IS6_NS4_IJS8_iEEELb0EEESE_SG_EEENS4_IJSJ_SL_SK_EEESQ_SR_lEENS3_INS4_IJSA_SG_SG_EEESW_NS4_IJSN_NSI_IJLi3EEEENSI_IJLi4EEEEEEESO_lEENS_16tensor_operation12element_wise11PassThroughES15_S15_Li16ELi128ELi4ELi16ELi16ELi4ELi1ELi1ENSI_IJLi16ELi16ELi1EEEENSI_IJLi1ELi0ELi2EEEES17_Li2ELi4ELi4ELb0ELb1ELi4ELb0ELi4ENSI_IJLi0ELi2ELi4ELi5ELi6ELi1ELi3ELi7EEEELi7ELi1EEEffSS_SX_S12_S15_S15_S15_NS_13TensorAdaptorINS4_IJNSB_IS6_Lb0EEES1B_NS_23Merge_v2_magic_divisionINS4_IJiiiiEEEEEEEENS4_IJSJ_SL_NSI_IJLi2ELi3ELi4ELi5EEEEEEENS4_IJNSI_IJLi2ELi4EEEENSI_IJLi3ELi5EEEENSI_IJLi6EEEEEEENSI_IJLi0ELi1EEEES1K_EELb0EEEvPKT0_S1Q_PT1_T2_T3_T4_T5_T6_T7_T8_.has_dyn_sized_stack, 0
	.set _ZN2ck32kernel_gemm_xdlops_skip_b_lds_v1INS_48GridwiseGemm_k0mk1_k0nk1_mn_xdlops_skip_b_lds_v1ILi256EfffLNS_25InMemoryDataOperationEnumE0ENS_16TensorDescriptorINS_5TupleIJNS_5EmbedINS4_IJiiEEENS4_IJiNS_17integral_constantIiLi1EEEEEELb0EEENS_7UnMergeINS4_IJiNS7_IiLi4EEEEEELb0EEENS_11PassThroughIiEEEEENS4_IJNS_8SequenceIJLi0EEEENSI_IJLi2EEEENSI_IJLi1EEEEEEENS4_IJNSI_IJLi1ELi2EEEENSI_IJLi3ELi4EEEENSI_IJLi5EEEEEEENSI_IJLi3ELi5ELi4EEEElEENS3_INS4_IJNS5_IS6_NS4_IJS8_iEEELb0EEESE_SG_EEENS4_IJSJ_SL_SK_EEESQ_SR_lEENS3_INS4_IJSA_SG_SG_EEESW_NS4_IJSN_NSI_IJLi3EEEENSI_IJLi4EEEEEEESO_lEENS_16tensor_operation12element_wise11PassThroughES15_S15_Li16ELi128ELi4ELi16ELi16ELi4ELi1ELi1ENSI_IJLi16ELi16ELi1EEEENSI_IJLi1ELi0ELi2EEEES17_Li2ELi4ELi4ELb0ELb1ELi4ELb0ELi4ENSI_IJLi0ELi2ELi4ELi5ELi6ELi1ELi3ELi7EEEELi7ELi1EEEffSS_SX_S12_S15_S15_S15_NS_13TensorAdaptorINS4_IJNSB_IS6_Lb0EEES1B_NS_23Merge_v2_magic_divisionINS4_IJiiiiEEEEEEEENS4_IJSJ_SL_NSI_IJLi2ELi3ELi4ELi5EEEEEEENS4_IJNSI_IJLi2ELi4EEEENSI_IJLi3ELi5EEEENSI_IJLi6EEEEEEENSI_IJLi0ELi1EEEES1K_EELb0EEEvPKT0_S1Q_PT1_T2_T3_T4_T5_T6_T7_T8_.has_recursion, 0
	.set _ZN2ck32kernel_gemm_xdlops_skip_b_lds_v1INS_48GridwiseGemm_k0mk1_k0nk1_mn_xdlops_skip_b_lds_v1ILi256EfffLNS_25InMemoryDataOperationEnumE0ENS_16TensorDescriptorINS_5TupleIJNS_5EmbedINS4_IJiiEEENS4_IJiNS_17integral_constantIiLi1EEEEEELb0EEENS_7UnMergeINS4_IJiNS7_IiLi4EEEEEELb0EEENS_11PassThroughIiEEEEENS4_IJNS_8SequenceIJLi0EEEENSI_IJLi2EEEENSI_IJLi1EEEEEEENS4_IJNSI_IJLi1ELi2EEEENSI_IJLi3ELi4EEEENSI_IJLi5EEEEEEENSI_IJLi3ELi5ELi4EEEElEENS3_INS4_IJNS5_IS6_NS4_IJS8_iEEELb0EEESE_SG_EEENS4_IJSJ_SL_SK_EEESQ_SR_lEENS3_INS4_IJSA_SG_SG_EEESW_NS4_IJSN_NSI_IJLi3EEEENSI_IJLi4EEEEEEESO_lEENS_16tensor_operation12element_wise11PassThroughES15_S15_Li16ELi128ELi4ELi16ELi16ELi4ELi1ELi1ENSI_IJLi16ELi16ELi1EEEENSI_IJLi1ELi0ELi2EEEES17_Li2ELi4ELi4ELb0ELb1ELi4ELb0ELi4ENSI_IJLi0ELi2ELi4ELi5ELi6ELi1ELi3ELi7EEEELi7ELi1EEEffSS_SX_S12_S15_S15_S15_NS_13TensorAdaptorINS4_IJNSB_IS6_Lb0EEES1B_NS_23Merge_v2_magic_divisionINS4_IJiiiiEEEEEEEENS4_IJSJ_SL_NSI_IJLi2ELi3ELi4ELi5EEEEEEENS4_IJNSI_IJLi2ELi4EEEENSI_IJLi3ELi5EEEENSI_IJLi6EEEEEEENSI_IJLi0ELi1EEEES1K_EELb0EEEvPKT0_S1Q_PT1_T2_T3_T4_T5_T6_T7_T8_.has_indirect_call, 0
	.section	.AMDGPU.csdata,"",@progbits
; Kernel info:
; codeLenInByte = 660
; TotalNumSgprs: 19
; NumVgprs: 14
; ScratchSize: 0
; MemoryBound: 0
; FloatMode: 240
; IeeeMode: 1
; LDSByteSize: 1072 bytes/workgroup (compile time only)
; SGPRBlocks: 0
; VGPRBlocks: 1
; NumSGPRsForWavesPerEU: 19
; NumVGPRsForWavesPerEU: 14
; Occupancy: 16
; WaveLimiterHint : 0
; COMPUTE_PGM_RSRC2:SCRATCH_EN: 0
; COMPUTE_PGM_RSRC2:USER_SGPR: 2
; COMPUTE_PGM_RSRC2:TRAP_HANDLER: 0
; COMPUTE_PGM_RSRC2:TGID_X_EN: 1
; COMPUTE_PGM_RSRC2:TGID_Y_EN: 0
; COMPUTE_PGM_RSRC2:TGID_Z_EN: 0
; COMPUTE_PGM_RSRC2:TIDIG_COMP_CNT: 0
	.section	.AMDGPU.gpr_maximums,"",@progbits
	.set amdgpu.max_num_vgpr, 0
	.set amdgpu.max_num_agpr, 0
	.set amdgpu.max_num_sgpr, 0
	.section	.AMDGPU.csdata,"",@progbits
	.protected	_ZN2ck53BlockwiseGemmXdlops_k0mk1_k0nk1_m0n0m1n1m2m3m4n2_v1r1ILi256EffKNS_16TensorDescriptorINS_5TupleIJNS_5EmbedINS2_IJNS_17integral_constantIiLi4EEENS4_IiLi16EEES5_EEENS2_IJNS4_IiLi68EEES5_NS4_IiLi1EEEEEELb0EEEEEENS2_IJNS_8SequenceIJLi0EEEEEEENS2_IJNSD_IJLi1ELi2ELi3EEEEEEESG_NS4_IlLl268EEEEEKNS1_INS2_IJNS_7UnMergeINS2_IJS9_S9_NS4_IiLi2EEES9_S9_S9_S9_S5_EEELb0EEEEEESF_NS2_IJNSD_IJLi1ELi2ELi3ELi4ELi5ELi6ELi7ELi8EEEEEEESQ_NS4_IlLl8EEEEELi16ELi128ELi4ELi16ELi16ELi1ELi1ELi4EE6MWavesE ; @_ZN2ck53BlockwiseGemmXdlops_k0mk1_k0nk1_m0n0m1n1m2m3m4n2_v1r1ILi256EffKNS_16TensorDescriptorINS_5TupleIJNS_5EmbedINS2_IJNS_17integral_constantIiLi4EEENS4_IiLi16EEES5_EEENS2_IJNS4_IiLi68EEES5_NS4_IiLi1EEEEEELb0EEEEEENS2_IJNS_8SequenceIJLi0EEEEEEENS2_IJNSD_IJLi1ELi2ELi3EEEEEEESG_NS4_IlLl268EEEEEKNS1_INS2_IJNS_7UnMergeINS2_IJS9_S9_NS4_IiLi2EEES9_S9_S9_S9_S5_EEELb0EEEEEESF_NS2_IJNSD_IJLi1ELi2ELi3ELi4ELi5ELi6ELi7ELi8EEEEEEESQ_NS4_IlLl8EEEEELi16ELi128ELi4ELi16ELi16ELi1ELi1ELi4EE6MWavesE
	.type	_ZN2ck53BlockwiseGemmXdlops_k0mk1_k0nk1_m0n0m1n1m2m3m4n2_v1r1ILi256EffKNS_16TensorDescriptorINS_5TupleIJNS_5EmbedINS2_IJNS_17integral_constantIiLi4EEENS4_IiLi16EEES5_EEENS2_IJNS4_IiLi68EEES5_NS4_IiLi1EEEEEELb0EEEEEENS2_IJNS_8SequenceIJLi0EEEEEEENS2_IJNSD_IJLi1ELi2ELi3EEEEEEESG_NS4_IlLl268EEEEEKNS1_INS2_IJNS_7UnMergeINS2_IJS9_S9_NS4_IiLi2EEES9_S9_S9_S9_S5_EEELb0EEEEEESF_NS2_IJNSD_IJLi1ELi2ELi3ELi4ELi5ELi6ELi7ELi8EEEEEEESQ_NS4_IlLl8EEEEELi16ELi128ELi4ELi16ELi16ELi1ELi1ELi4EE6MWavesE,@object
	.section	.rodata._ZN2ck53BlockwiseGemmXdlops_k0mk1_k0nk1_m0n0m1n1m2m3m4n2_v1r1ILi256EffKNS_16TensorDescriptorINS_5TupleIJNS_5EmbedINS2_IJNS_17integral_constantIiLi4EEENS4_IiLi16EEES5_EEENS2_IJNS4_IiLi68EEES5_NS4_IiLi1EEEEEELb0EEEEEENS2_IJNS_8SequenceIJLi0EEEEEEENS2_IJNSD_IJLi1ELi2ELi3EEEEEEESG_NS4_IlLl268EEEEEKNS1_INS2_IJNS_7UnMergeINS2_IJS9_S9_NS4_IiLi2EEES9_S9_S9_S9_S5_EEELb0EEEEEESF_NS2_IJNSD_IJLi1ELi2ELi3ELi4ELi5ELi6ELi7ELi8EEEEEEESQ_NS4_IlLl8EEEEELi16ELi128ELi4ELi16ELi16ELi1ELi1ELi4EE6MWavesE,"aG",@progbits,_ZN2ck53BlockwiseGemmXdlops_k0mk1_k0nk1_m0n0m1n1m2m3m4n2_v1r1ILi256EffKNS_16TensorDescriptorINS_5TupleIJNS_5EmbedINS2_IJNS_17integral_constantIiLi4EEENS4_IiLi16EEES5_EEENS2_IJNS4_IiLi68EEES5_NS4_IiLi1EEEEEELb0EEEEEENS2_IJNS_8SequenceIJLi0EEEEEEENS2_IJNSD_IJLi1ELi2ELi3EEEEEEESG_NS4_IlLl268EEEEEKNS1_INS2_IJNS_7UnMergeINS2_IJS9_S9_NS4_IiLi2EEES9_S9_S9_S9_S5_EEELb0EEEEEESF_NS2_IJNSD_IJLi1ELi2ELi3ELi4ELi5ELi6ELi7ELi8EEEEEEESQ_NS4_IlLl8EEEEELi16ELi128ELi4ELi16ELi16ELi1ELi1ELi4EE6MWavesE,comdat
	.weak	_ZN2ck53BlockwiseGemmXdlops_k0mk1_k0nk1_m0n0m1n1m2m3m4n2_v1r1ILi256EffKNS_16TensorDescriptorINS_5TupleIJNS_5EmbedINS2_IJNS_17integral_constantIiLi4EEENS4_IiLi16EEES5_EEENS2_IJNS4_IiLi68EEES5_NS4_IiLi1EEEEEELb0EEEEEENS2_IJNS_8SequenceIJLi0EEEEEEENS2_IJNSD_IJLi1ELi2ELi3EEEEEEESG_NS4_IlLl268EEEEEKNS1_INS2_IJNS_7UnMergeINS2_IJS9_S9_NS4_IiLi2EEES9_S9_S9_S9_S5_EEELb0EEEEEESF_NS2_IJNSD_IJLi1ELi2ELi3ELi4ELi5ELi6ELi7ELi8EEEEEEESQ_NS4_IlLl8EEEEELi16ELi128ELi4ELi16ELi16ELi1ELi1ELi4EE6MWavesE
	.p2align	2, 0x0
_ZN2ck53BlockwiseGemmXdlops_k0mk1_k0nk1_m0n0m1n1m2m3m4n2_v1r1ILi256EffKNS_16TensorDescriptorINS_5TupleIJNS_5EmbedINS2_IJNS_17integral_constantIiLi4EEENS4_IiLi16EEES5_EEENS2_IJNS4_IiLi68EEES5_NS4_IiLi1EEEEEELb0EEEEEENS2_IJNS_8SequenceIJLi0EEEEEEENS2_IJNSD_IJLi1ELi2ELi3EEEEEEESG_NS4_IlLl268EEEEEKNS1_INS2_IJNS_7UnMergeINS2_IJS9_S9_NS4_IiLi2EEES9_S9_S9_S9_S5_EEELb0EEEEEESF_NS2_IJNSD_IJLi1ELi2ELi3ELi4ELi5ELi6ELi7ELi8EEEEEEESQ_NS4_IlLl8EEEEELi16ELi128ELi4ELi16ELi16ELi1ELi1ELi4EE6MWavesE:
	.long	1                               ; 0x1
	.size	_ZN2ck53BlockwiseGemmXdlops_k0mk1_k0nk1_m0n0m1n1m2m3m4n2_v1r1ILi256EffKNS_16TensorDescriptorINS_5TupleIJNS_5EmbedINS2_IJNS_17integral_constantIiLi4EEENS4_IiLi16EEES5_EEENS2_IJNS4_IiLi68EEES5_NS4_IiLi1EEEEEELb0EEEEEENS2_IJNS_8SequenceIJLi0EEEEEEENS2_IJNSD_IJLi1ELi2ELi3EEEEEEESG_NS4_IlLl268EEEEEKNS1_INS2_IJNS_7UnMergeINS2_IJS9_S9_NS4_IiLi2EEES9_S9_S9_S9_S5_EEELb0EEEEEESF_NS2_IJNSD_IJLi1ELi2ELi3ELi4ELi5ELi6ELi7ELi8EEEEEEESQ_NS4_IlLl8EEEEELi16ELi128ELi4ELi16ELi16ELi1ELi1ELi4EE6MWavesE, 4

	.protected	_ZN2ck53BlockwiseGemmXdlops_k0mk1_k0nk1_m0n0m1n1m2m3m4n2_v1r1ILi256EffKNS_16TensorDescriptorINS_5TupleIJNS_5EmbedINS2_IJNS_17integral_constantIiLi4EEENS4_IiLi16EEES5_EEENS2_IJNS4_IiLi68EEES5_NS4_IiLi1EEEEEELb0EEEEEENS2_IJNS_8SequenceIJLi0EEEEEEENS2_IJNSD_IJLi1ELi2ELi3EEEEEEESG_NS4_IlLl268EEEEEKNS1_INS2_IJNS_7UnMergeINS2_IJS9_S9_NS4_IiLi2EEES9_S9_S9_S9_S5_EEELb0EEEEEESF_NS2_IJNSD_IJLi1ELi2ELi3ELi4ELi5ELi6ELi7ELi8EEEEEEESQ_NS4_IlLl8EEEEELi16ELi128ELi4ELi16ELi16ELi1ELi1ELi4EE6NWavesE ; @_ZN2ck53BlockwiseGemmXdlops_k0mk1_k0nk1_m0n0m1n1m2m3m4n2_v1r1ILi256EffKNS_16TensorDescriptorINS_5TupleIJNS_5EmbedINS2_IJNS_17integral_constantIiLi4EEENS4_IiLi16EEES5_EEENS2_IJNS4_IiLi68EEES5_NS4_IiLi1EEEEEELb0EEEEEENS2_IJNS_8SequenceIJLi0EEEEEEENS2_IJNSD_IJLi1ELi2ELi3EEEEEEESG_NS4_IlLl268EEEEEKNS1_INS2_IJNS_7UnMergeINS2_IJS9_S9_NS4_IiLi2EEES9_S9_S9_S9_S5_EEELb0EEEEEESF_NS2_IJNSD_IJLi1ELi2ELi3ELi4ELi5ELi6ELi7ELi8EEEEEEESQ_NS4_IlLl8EEEEELi16ELi128ELi4ELi16ELi16ELi1ELi1ELi4EE6NWavesE
	.type	_ZN2ck53BlockwiseGemmXdlops_k0mk1_k0nk1_m0n0m1n1m2m3m4n2_v1r1ILi256EffKNS_16TensorDescriptorINS_5TupleIJNS_5EmbedINS2_IJNS_17integral_constantIiLi4EEENS4_IiLi16EEES5_EEENS2_IJNS4_IiLi68EEES5_NS4_IiLi1EEEEEELb0EEEEEENS2_IJNS_8SequenceIJLi0EEEEEEENS2_IJNSD_IJLi1ELi2ELi3EEEEEEESG_NS4_IlLl268EEEEEKNS1_INS2_IJNS_7UnMergeINS2_IJS9_S9_NS4_IiLi2EEES9_S9_S9_S9_S5_EEELb0EEEEEESF_NS2_IJNSD_IJLi1ELi2ELi3ELi4ELi5ELi6ELi7ELi8EEEEEEESQ_NS4_IlLl8EEEEELi16ELi128ELi4ELi16ELi16ELi1ELi1ELi4EE6NWavesE,@object
	.section	.rodata._ZN2ck53BlockwiseGemmXdlops_k0mk1_k0nk1_m0n0m1n1m2m3m4n2_v1r1ILi256EffKNS_16TensorDescriptorINS_5TupleIJNS_5EmbedINS2_IJNS_17integral_constantIiLi4EEENS4_IiLi16EEES5_EEENS2_IJNS4_IiLi68EEES5_NS4_IiLi1EEEEEELb0EEEEEENS2_IJNS_8SequenceIJLi0EEEEEEENS2_IJNSD_IJLi1ELi2ELi3EEEEEEESG_NS4_IlLl268EEEEEKNS1_INS2_IJNS_7UnMergeINS2_IJS9_S9_NS4_IiLi2EEES9_S9_S9_S9_S5_EEELb0EEEEEESF_NS2_IJNSD_IJLi1ELi2ELi3ELi4ELi5ELi6ELi7ELi8EEEEEEESQ_NS4_IlLl8EEEEELi16ELi128ELi4ELi16ELi16ELi1ELi1ELi4EE6NWavesE,"aG",@progbits,_ZN2ck53BlockwiseGemmXdlops_k0mk1_k0nk1_m0n0m1n1m2m3m4n2_v1r1ILi256EffKNS_16TensorDescriptorINS_5TupleIJNS_5EmbedINS2_IJNS_17integral_constantIiLi4EEENS4_IiLi16EEES5_EEENS2_IJNS4_IiLi68EEES5_NS4_IiLi1EEEEEELb0EEEEEENS2_IJNS_8SequenceIJLi0EEEEEEENS2_IJNSD_IJLi1ELi2ELi3EEEEEEESG_NS4_IlLl268EEEEEKNS1_INS2_IJNS_7UnMergeINS2_IJS9_S9_NS4_IiLi2EEES9_S9_S9_S9_S5_EEELb0EEEEEESF_NS2_IJNSD_IJLi1ELi2ELi3ELi4ELi5ELi6ELi7ELi8EEEEEEESQ_NS4_IlLl8EEEEELi16ELi128ELi4ELi16ELi16ELi1ELi1ELi4EE6NWavesE,comdat
	.weak	_ZN2ck53BlockwiseGemmXdlops_k0mk1_k0nk1_m0n0m1n1m2m3m4n2_v1r1ILi256EffKNS_16TensorDescriptorINS_5TupleIJNS_5EmbedINS2_IJNS_17integral_constantIiLi4EEENS4_IiLi16EEES5_EEENS2_IJNS4_IiLi68EEES5_NS4_IiLi1EEEEEELb0EEEEEENS2_IJNS_8SequenceIJLi0EEEEEEENS2_IJNSD_IJLi1ELi2ELi3EEEEEEESG_NS4_IlLl268EEEEEKNS1_INS2_IJNS_7UnMergeINS2_IJS9_S9_NS4_IiLi2EEES9_S9_S9_S9_S5_EEELb0EEEEEESF_NS2_IJNSD_IJLi1ELi2ELi3ELi4ELi5ELi6ELi7ELi8EEEEEEESQ_NS4_IlLl8EEEEELi16ELi128ELi4ELi16ELi16ELi1ELi1ELi4EE6NWavesE
	.p2align	2, 0x0
_ZN2ck53BlockwiseGemmXdlops_k0mk1_k0nk1_m0n0m1n1m2m3m4n2_v1r1ILi256EffKNS_16TensorDescriptorINS_5TupleIJNS_5EmbedINS2_IJNS_17integral_constantIiLi4EEENS4_IiLi16EEES5_EEENS2_IJNS4_IiLi68EEES5_NS4_IiLi1EEEEEELb0EEEEEENS2_IJNS_8SequenceIJLi0EEEEEEENS2_IJNSD_IJLi1ELi2ELi3EEEEEEESG_NS4_IlLl268EEEEEKNS1_INS2_IJNS_7UnMergeINS2_IJS9_S9_NS4_IiLi2EEES9_S9_S9_S9_S5_EEELb0EEEEEESF_NS2_IJNSD_IJLi1ELi2ELi3ELi4ELi5ELi6ELi7ELi8EEEEEEESQ_NS4_IlLl8EEEEELi16ELi128ELi4ELi16ELi16ELi1ELi1ELi4EE6NWavesE:
	.long	8                               ; 0x8
	.size	_ZN2ck53BlockwiseGemmXdlops_k0mk1_k0nk1_m0n0m1n1m2m3m4n2_v1r1ILi256EffKNS_16TensorDescriptorINS_5TupleIJNS_5EmbedINS2_IJNS_17integral_constantIiLi4EEENS4_IiLi16EEES5_EEENS2_IJNS4_IiLi68EEES5_NS4_IiLi1EEEEEELb0EEEEEENS2_IJNS_8SequenceIJLi0EEEEEEENS2_IJNSD_IJLi1ELi2ELi3EEEEEEESG_NS4_IlLl268EEEEEKNS1_INS2_IJNS_7UnMergeINS2_IJS9_S9_NS4_IiLi2EEES9_S9_S9_S9_S5_EEELb0EEEEEESF_NS2_IJNSD_IJLi1ELi2ELi3ELi4ELi5ELi6ELi7ELi8EEEEEEESQ_NS4_IlLl8EEEEELi16ELi128ELi4ELi16ELi16ELi1ELi1ELi4EE6NWavesE, 4

	.type	__hip_cuid_2210188ddf570311,@object ; @__hip_cuid_2210188ddf570311
	.section	.bss,"aw",@nobits
	.globl	__hip_cuid_2210188ddf570311
__hip_cuid_2210188ddf570311:
	.byte	0                               ; 0x0
	.size	__hip_cuid_2210188ddf570311, 1

	.ident	"AMD clang version 22.0.0git (https://github.com/RadeonOpenCompute/llvm-project roc-7.2.4 26084 f58b06dce1f9c15707c5f808fd002e18c2accf7e)"
	.section	".note.GNU-stack","",@progbits
	.addrsig
	.addrsig_sym __hip_cuid_2210188ddf570311
	.amdgpu_metadata
---
amdhsa.kernels:
  - .args:           []
    .group_segment_fixed_size: 0
    .kernarg_segment_align: 4
    .kernarg_segment_size: 0
    .language:       OpenCL C
    .language_version:
      - 2
      - 0
    .max_flat_workgroup_size: 1024
    .name:           _ZN2ckL12flush_icacheEv
    .private_segment_fixed_size: 0
    .sgpr_count:     0
    .sgpr_spill_count: 0
    .symbol:         _ZN2ckL12flush_icacheEv.kd
    .uniform_work_group_size: 1
    .uses_dynamic_stack: false
    .vgpr_count:     0
    .vgpr_spill_count: 0
    .wavefront_size: 32
    .workgroup_processor_mode: 1
  - .args:
      - .actual_access:  read_only
        .address_space:  global
        .offset:         0
        .size:           8
        .value_kind:     global_buffer
      - .actual_access:  read_only
        .address_space:  global
        .offset:         8
        .size:           8
        .value_kind:     global_buffer
      - .actual_access:  read_only
        .address_space:  global
        .offset:         16
        .size:           8
        .value_kind:     global_buffer
      - .offset:         24
        .size:           48
        .value_kind:     by_value
      - .offset:         72
        .size:           48
        .value_kind:     by_value
      - .offset:         120
        .size:           40
        .value_kind:     by_value
      - .offset:         160
        .size:           1
        .value_kind:     by_value
      - .offset:         161
        .size:           1
        .value_kind:     by_value
      - .offset:         162
        .size:           1
        .value_kind:     by_value
      - .offset:         164
        .size:           88
        .value_kind:     by_value
    .group_segment_fixed_size: 0
    .kernarg_segment_align: 8
    .kernarg_segment_size: 252
    .language:       OpenCL C
    .language_version:
      - 2
      - 0
    .max_flat_workgroup_size: 256
    .name:           _ZN2ck32kernel_gemm_xdlops_skip_b_lds_v1INS_48GridwiseGemm_k0mk1_k0nk1_mn_xdlops_skip_b_lds_v1ILi256EfffLNS_25InMemoryDataOperationEnumE0ENS_16TensorDescriptorINS_5TupleIJNS_5EmbedINS4_IJiiEEENS4_IJiNS_17integral_constantIiLi1EEEEEELb0EEENS_7UnMergeINS4_IJiNS7_IiLi4EEEEEELb0EEENS_11PassThroughIiEEEEENS4_IJNS_8SequenceIJLi0EEEENSI_IJLi2EEEENSI_IJLi1EEEEEEENS4_IJNSI_IJLi1ELi2EEEENSI_IJLi3ELi4EEEENSI_IJLi5EEEEEEENSI_IJLi3ELi5ELi4EEEElEENS3_INS4_IJNS5_IS6_NS4_IJS8_iEEELb0EEESE_SG_EEENS4_IJSJ_SL_SK_EEESQ_SR_lEENS3_INS4_IJSA_SG_SG_EEESW_NS4_IJSN_NSI_IJLi3EEEENSI_IJLi4EEEEEEESO_lEENS_16tensor_operation12element_wise11PassThroughES15_S15_Li16ELi128ELi4ELi16ELi16ELi4ELi1ELi2ENSI_IJLi16ELi16ELi1EEEENSI_IJLi1ELi0ELi2EEEES17_Li2ELi4ELi4ELb0ELb1ELi4ELb0ELi4ENSI_IJLi0ELi2ELi4ELi5ELi6ELi1ELi3ELi7EEEELi7ELi1EEEffSS_SX_S12_S15_S15_S15_NS_13TensorAdaptorINS4_IJNSB_IS6_Lb0EEES1B_NS_23Merge_v2_magic_divisionINS4_IJiiiiEEEEEEEENS4_IJSJ_SL_NSI_IJLi2ELi3ELi4ELi5EEEEEEENS4_IJNSI_IJLi2ELi4EEEENSI_IJLi3ELi5EEEENSI_IJLi6EEEEEEENSI_IJLi0ELi1EEEES1K_EELb1EEEvPKT0_S1Q_PT1_T2_T3_T4_T5_T6_T7_T8_
    .private_segment_fixed_size: 0
    .sgpr_count:     0
    .sgpr_spill_count: 0
    .symbol:         _ZN2ck32kernel_gemm_xdlops_skip_b_lds_v1INS_48GridwiseGemm_k0mk1_k0nk1_mn_xdlops_skip_b_lds_v1ILi256EfffLNS_25InMemoryDataOperationEnumE0ENS_16TensorDescriptorINS_5TupleIJNS_5EmbedINS4_IJiiEEENS4_IJiNS_17integral_constantIiLi1EEEEEELb0EEENS_7UnMergeINS4_IJiNS7_IiLi4EEEEEELb0EEENS_11PassThroughIiEEEEENS4_IJNS_8SequenceIJLi0EEEENSI_IJLi2EEEENSI_IJLi1EEEEEEENS4_IJNSI_IJLi1ELi2EEEENSI_IJLi3ELi4EEEENSI_IJLi5EEEEEEENSI_IJLi3ELi5ELi4EEEElEENS3_INS4_IJNS5_IS6_NS4_IJS8_iEEELb0EEESE_SG_EEENS4_IJSJ_SL_SK_EEESQ_SR_lEENS3_INS4_IJSA_SG_SG_EEESW_NS4_IJSN_NSI_IJLi3EEEENSI_IJLi4EEEEEEESO_lEENS_16tensor_operation12element_wise11PassThroughES15_S15_Li16ELi128ELi4ELi16ELi16ELi4ELi1ELi2ENSI_IJLi16ELi16ELi1EEEENSI_IJLi1ELi0ELi2EEEES17_Li2ELi4ELi4ELb0ELb1ELi4ELb0ELi4ENSI_IJLi0ELi2ELi4ELi5ELi6ELi1ELi3ELi7EEEELi7ELi1EEEffSS_SX_S12_S15_S15_S15_NS_13TensorAdaptorINS4_IJNSB_IS6_Lb0EEES1B_NS_23Merge_v2_magic_divisionINS4_IJiiiiEEEEEEEENS4_IJSJ_SL_NSI_IJLi2ELi3ELi4ELi5EEEEEEENS4_IJNSI_IJLi2ELi4EEEENSI_IJLi3ELi5EEEENSI_IJLi6EEEEEEENSI_IJLi0ELi1EEEES1K_EELb1EEEvPKT0_S1Q_PT1_T2_T3_T4_T5_T6_T7_T8_.kd
    .uniform_work_group_size: 1
    .uses_dynamic_stack: false
    .vgpr_count:     0
    .vgpr_spill_count: 0
    .wavefront_size: 32
    .workgroup_processor_mode: 1
  - .args:
      - .actual_access:  read_only
        .address_space:  global
        .offset:         0
        .size:           8
        .value_kind:     global_buffer
      - .actual_access:  read_only
        .address_space:  global
        .offset:         8
        .size:           8
        .value_kind:     global_buffer
      - .actual_access:  read_only
        .address_space:  global
        .offset:         16
        .size:           8
        .value_kind:     global_buffer
      - .offset:         24
        .size:           48
        .value_kind:     by_value
      - .offset:         72
        .size:           48
        .value_kind:     by_value
      - .offset:         120
        .size:           40
        .value_kind:     by_value
      - .offset:         160
        .size:           1
        .value_kind:     by_value
      - .offset:         161
        .size:           1
        .value_kind:     by_value
      - .offset:         162
        .size:           1
        .value_kind:     by_value
      - .offset:         164
        .size:           88
        .value_kind:     by_value
    .group_segment_fixed_size: 0
    .kernarg_segment_align: 8
    .kernarg_segment_size: 252
    .language:       OpenCL C
    .language_version:
      - 2
      - 0
    .max_flat_workgroup_size: 256
    .name:           _ZN2ck32kernel_gemm_xdlops_skip_b_lds_v1INS_48GridwiseGemm_k0mk1_k0nk1_mn_xdlops_skip_b_lds_v1ILi256EfffLNS_25InMemoryDataOperationEnumE0ENS_16TensorDescriptorINS_5TupleIJNS_5EmbedINS4_IJiiEEENS4_IJiNS_17integral_constantIiLi1EEEEEELb0EEENS_7UnMergeINS4_IJiNS7_IiLi4EEEEEELb0EEENS_11PassThroughIiEEEEENS4_IJNS_8SequenceIJLi0EEEENSI_IJLi2EEEENSI_IJLi1EEEEEEENS4_IJNSI_IJLi1ELi2EEEENSI_IJLi3ELi4EEEENSI_IJLi5EEEEEEENSI_IJLi3ELi5ELi4EEEElEENS3_INS4_IJNS5_IS6_NS4_IJS8_iEEELb0EEESE_SG_EEENS4_IJSJ_SL_SK_EEESQ_SR_lEENS3_INS4_IJSA_SG_SG_EEESW_NS4_IJSN_NSI_IJLi3EEEENSI_IJLi4EEEEEEESO_lEENS_16tensor_operation12element_wise11PassThroughES15_S15_Li16ELi128ELi4ELi16ELi16ELi4ELi1ELi2ENSI_IJLi16ELi16ELi1EEEENSI_IJLi1ELi0ELi2EEEES17_Li2ELi4ELi4ELb0ELb1ELi4ELb0ELi4ENSI_IJLi0ELi2ELi4ELi5ELi6ELi1ELi3ELi7EEEELi7ELi1EEEffSS_SX_S12_S15_S15_S15_NS_13TensorAdaptorINS4_IJNSB_IS6_Lb0EEES1B_NS_23Merge_v2_magic_divisionINS4_IJiiiiEEEEEEEENS4_IJSJ_SL_NSI_IJLi2ELi3ELi4ELi5EEEEEEENS4_IJNSI_IJLi2ELi4EEEENSI_IJLi3ELi5EEEENSI_IJLi6EEEEEEENSI_IJLi0ELi1EEEES1K_EELb0EEEvPKT0_S1Q_PT1_T2_T3_T4_T5_T6_T7_T8_
    .private_segment_fixed_size: 0
    .sgpr_count:     0
    .sgpr_spill_count: 0
    .symbol:         _ZN2ck32kernel_gemm_xdlops_skip_b_lds_v1INS_48GridwiseGemm_k0mk1_k0nk1_mn_xdlops_skip_b_lds_v1ILi256EfffLNS_25InMemoryDataOperationEnumE0ENS_16TensorDescriptorINS_5TupleIJNS_5EmbedINS4_IJiiEEENS4_IJiNS_17integral_constantIiLi1EEEEEELb0EEENS_7UnMergeINS4_IJiNS7_IiLi4EEEEEELb0EEENS_11PassThroughIiEEEEENS4_IJNS_8SequenceIJLi0EEEENSI_IJLi2EEEENSI_IJLi1EEEEEEENS4_IJNSI_IJLi1ELi2EEEENSI_IJLi3ELi4EEEENSI_IJLi5EEEEEEENSI_IJLi3ELi5ELi4EEEElEENS3_INS4_IJNS5_IS6_NS4_IJS8_iEEELb0EEESE_SG_EEENS4_IJSJ_SL_SK_EEESQ_SR_lEENS3_INS4_IJSA_SG_SG_EEESW_NS4_IJSN_NSI_IJLi3EEEENSI_IJLi4EEEEEEESO_lEENS_16tensor_operation12element_wise11PassThroughES15_S15_Li16ELi128ELi4ELi16ELi16ELi4ELi1ELi2ENSI_IJLi16ELi16ELi1EEEENSI_IJLi1ELi0ELi2EEEES17_Li2ELi4ELi4ELb0ELb1ELi4ELb0ELi4ENSI_IJLi0ELi2ELi4ELi5ELi6ELi1ELi3ELi7EEEELi7ELi1EEEffSS_SX_S12_S15_S15_S15_NS_13TensorAdaptorINS4_IJNSB_IS6_Lb0EEES1B_NS_23Merge_v2_magic_divisionINS4_IJiiiiEEEEEEEENS4_IJSJ_SL_NSI_IJLi2ELi3ELi4ELi5EEEEEEENS4_IJNSI_IJLi2ELi4EEEENSI_IJLi3ELi5EEEENSI_IJLi6EEEEEEENSI_IJLi0ELi1EEEES1K_EELb0EEEvPKT0_S1Q_PT1_T2_T3_T4_T5_T6_T7_T8_.kd
    .uniform_work_group_size: 1
    .uses_dynamic_stack: false
    .vgpr_count:     0
    .vgpr_spill_count: 0
    .wavefront_size: 32
    .workgroup_processor_mode: 1
  - .args:
      - .actual_access:  read_only
        .address_space:  global
        .offset:         0
        .size:           8
        .value_kind:     global_buffer
      - .actual_access:  read_only
        .address_space:  global
        .offset:         8
        .size:           8
        .value_kind:     global_buffer
      - .actual_access:  write_only
        .address_space:  global
        .offset:         16
        .size:           8
        .value_kind:     global_buffer
      - .offset:         24
        .size:           48
        .value_kind:     by_value
      - .offset:         72
        .size:           48
        .value_kind:     by_value
      - .offset:         120
        .size:           40
        .value_kind:     by_value
      - .offset:         160
        .size:           1
        .value_kind:     by_value
      - .offset:         161
        .size:           1
        .value_kind:     by_value
      - .offset:         162
        .size:           1
        .value_kind:     by_value
      - .offset:         164
        .size:           88
        .value_kind:     by_value
    .group_segment_fixed_size: 1072
    .kernarg_segment_align: 8
    .kernarg_segment_size: 252
    .language:       OpenCL C
    .language_version:
      - 2
      - 0
    .max_flat_workgroup_size: 256
    .name:           _ZN2ck32kernel_gemm_xdlops_skip_b_lds_v1INS_48GridwiseGemm_k0mk1_k0nk1_mn_xdlops_skip_b_lds_v1ILi256EfffLNS_25InMemoryDataOperationEnumE0ENS_16TensorDescriptorINS_5TupleIJNS_5EmbedINS4_IJiiEEENS4_IJiNS_17integral_constantIiLi1EEEEEELb0EEENS_7UnMergeINS4_IJiNS7_IiLi4EEEEEELb0EEENS_11PassThroughIiEEEEENS4_IJNS_8SequenceIJLi0EEEENSI_IJLi2EEEENSI_IJLi1EEEEEEENS4_IJNSI_IJLi1ELi2EEEENSI_IJLi3ELi4EEEENSI_IJLi5EEEEEEENSI_IJLi3ELi5ELi4EEEElEENS3_INS4_IJNS5_IS6_NS4_IJS8_iEEELb0EEESE_SG_EEENS4_IJSJ_SL_SK_EEESQ_SR_lEENS3_INS4_IJSA_SG_SG_EEESW_NS4_IJSN_NSI_IJLi3EEEENSI_IJLi4EEEEEEESO_lEENS_16tensor_operation12element_wise11PassThroughES15_S15_Li16ELi128ELi4ELi16ELi16ELi4ELi1ELi1ENSI_IJLi16ELi16ELi1EEEENSI_IJLi1ELi0ELi2EEEES17_Li2ELi4ELi4ELb0ELb1ELi4ELb0ELi4ENSI_IJLi0ELi2ELi4ELi5ELi6ELi1ELi3ELi7EEEELi7ELi1EEEffSS_SX_S12_S15_S15_S15_NS_13TensorAdaptorINS4_IJNSB_IS6_Lb0EEES1B_NS_23Merge_v2_magic_divisionINS4_IJiiiiEEEEEEEENS4_IJSJ_SL_NSI_IJLi2ELi3ELi4ELi5EEEEEEENS4_IJNSI_IJLi2ELi4EEEENSI_IJLi3ELi5EEEENSI_IJLi6EEEEEEENSI_IJLi0ELi1EEEES1K_EELb1EEEvPKT0_S1Q_PT1_T2_T3_T4_T5_T6_T7_T8_
    .private_segment_fixed_size: 0
    .sgpr_count:     21
    .sgpr_spill_count: 0
    .symbol:         _ZN2ck32kernel_gemm_xdlops_skip_b_lds_v1INS_48GridwiseGemm_k0mk1_k0nk1_mn_xdlops_skip_b_lds_v1ILi256EfffLNS_25InMemoryDataOperationEnumE0ENS_16TensorDescriptorINS_5TupleIJNS_5EmbedINS4_IJiiEEENS4_IJiNS_17integral_constantIiLi1EEEEEELb0EEENS_7UnMergeINS4_IJiNS7_IiLi4EEEEEELb0EEENS_11PassThroughIiEEEEENS4_IJNS_8SequenceIJLi0EEEENSI_IJLi2EEEENSI_IJLi1EEEEEEENS4_IJNSI_IJLi1ELi2EEEENSI_IJLi3ELi4EEEENSI_IJLi5EEEEEEENSI_IJLi3ELi5ELi4EEEElEENS3_INS4_IJNS5_IS6_NS4_IJS8_iEEELb0EEESE_SG_EEENS4_IJSJ_SL_SK_EEESQ_SR_lEENS3_INS4_IJSA_SG_SG_EEESW_NS4_IJSN_NSI_IJLi3EEEENSI_IJLi4EEEEEEESO_lEENS_16tensor_operation12element_wise11PassThroughES15_S15_Li16ELi128ELi4ELi16ELi16ELi4ELi1ELi1ENSI_IJLi16ELi16ELi1EEEENSI_IJLi1ELi0ELi2EEEES17_Li2ELi4ELi4ELb0ELb1ELi4ELb0ELi4ENSI_IJLi0ELi2ELi4ELi5ELi6ELi1ELi3ELi7EEEELi7ELi1EEEffSS_SX_S12_S15_S15_S15_NS_13TensorAdaptorINS4_IJNSB_IS6_Lb0EEES1B_NS_23Merge_v2_magic_divisionINS4_IJiiiiEEEEEEEENS4_IJSJ_SL_NSI_IJLi2ELi3ELi4ELi5EEEEEEENS4_IJNSI_IJLi2ELi4EEEENSI_IJLi3ELi5EEEENSI_IJLi6EEEEEEENSI_IJLi0ELi1EEEES1K_EELb1EEEvPKT0_S1Q_PT1_T2_T3_T4_T5_T6_T7_T8_.kd
    .uniform_work_group_size: 1
    .uses_dynamic_stack: false
    .vgpr_count:     10
    .vgpr_spill_count: 0
    .wavefront_size: 32
    .workgroup_processor_mode: 1
  - .args:
      - .actual_access:  read_only
        .address_space:  global
        .offset:         0
        .size:           8
        .value_kind:     global_buffer
      - .actual_access:  read_only
        .address_space:  global
        .offset:         8
        .size:           8
        .value_kind:     global_buffer
      - .actual_access:  write_only
        .address_space:  global
        .offset:         16
        .size:           8
        .value_kind:     global_buffer
      - .offset:         24
        .size:           48
        .value_kind:     by_value
      - .offset:         72
        .size:           48
        .value_kind:     by_value
      - .offset:         120
        .size:           40
        .value_kind:     by_value
      - .offset:         160
        .size:           1
        .value_kind:     by_value
      - .offset:         161
        .size:           1
        .value_kind:     by_value
      - .offset:         162
        .size:           1
        .value_kind:     by_value
      - .offset:         164
        .size:           88
        .value_kind:     by_value
    .group_segment_fixed_size: 1072
    .kernarg_segment_align: 8
    .kernarg_segment_size: 252
    .language:       OpenCL C
    .language_version:
      - 2
      - 0
    .max_flat_workgroup_size: 256
    .name:           _ZN2ck32kernel_gemm_xdlops_skip_b_lds_v1INS_48GridwiseGemm_k0mk1_k0nk1_mn_xdlops_skip_b_lds_v1ILi256EfffLNS_25InMemoryDataOperationEnumE0ENS_16TensorDescriptorINS_5TupleIJNS_5EmbedINS4_IJiiEEENS4_IJiNS_17integral_constantIiLi1EEEEEELb0EEENS_7UnMergeINS4_IJiNS7_IiLi4EEEEEELb0EEENS_11PassThroughIiEEEEENS4_IJNS_8SequenceIJLi0EEEENSI_IJLi2EEEENSI_IJLi1EEEEEEENS4_IJNSI_IJLi1ELi2EEEENSI_IJLi3ELi4EEEENSI_IJLi5EEEEEEENSI_IJLi3ELi5ELi4EEEElEENS3_INS4_IJNS5_IS6_NS4_IJS8_iEEELb0EEESE_SG_EEENS4_IJSJ_SL_SK_EEESQ_SR_lEENS3_INS4_IJSA_SG_SG_EEESW_NS4_IJSN_NSI_IJLi3EEEENSI_IJLi4EEEEEEESO_lEENS_16tensor_operation12element_wise11PassThroughES15_S15_Li16ELi128ELi4ELi16ELi16ELi4ELi1ELi1ENSI_IJLi16ELi16ELi1EEEENSI_IJLi1ELi0ELi2EEEES17_Li2ELi4ELi4ELb0ELb1ELi4ELb0ELi4ENSI_IJLi0ELi2ELi4ELi5ELi6ELi1ELi3ELi7EEEELi7ELi1EEEffSS_SX_S12_S15_S15_S15_NS_13TensorAdaptorINS4_IJNSB_IS6_Lb0EEES1B_NS_23Merge_v2_magic_divisionINS4_IJiiiiEEEEEEEENS4_IJSJ_SL_NSI_IJLi2ELi3ELi4ELi5EEEEEEENS4_IJNSI_IJLi2ELi4EEEENSI_IJLi3ELi5EEEENSI_IJLi6EEEEEEENSI_IJLi0ELi1EEEES1K_EELb0EEEvPKT0_S1Q_PT1_T2_T3_T4_T5_T6_T7_T8_
    .private_segment_fixed_size: 0
    .sgpr_count:     19
    .sgpr_spill_count: 0
    .symbol:         _ZN2ck32kernel_gemm_xdlops_skip_b_lds_v1INS_48GridwiseGemm_k0mk1_k0nk1_mn_xdlops_skip_b_lds_v1ILi256EfffLNS_25InMemoryDataOperationEnumE0ENS_16TensorDescriptorINS_5TupleIJNS_5EmbedINS4_IJiiEEENS4_IJiNS_17integral_constantIiLi1EEEEEELb0EEENS_7UnMergeINS4_IJiNS7_IiLi4EEEEEELb0EEENS_11PassThroughIiEEEEENS4_IJNS_8SequenceIJLi0EEEENSI_IJLi2EEEENSI_IJLi1EEEEEEENS4_IJNSI_IJLi1ELi2EEEENSI_IJLi3ELi4EEEENSI_IJLi5EEEEEEENSI_IJLi3ELi5ELi4EEEElEENS3_INS4_IJNS5_IS6_NS4_IJS8_iEEELb0EEESE_SG_EEENS4_IJSJ_SL_SK_EEESQ_SR_lEENS3_INS4_IJSA_SG_SG_EEESW_NS4_IJSN_NSI_IJLi3EEEENSI_IJLi4EEEEEEESO_lEENS_16tensor_operation12element_wise11PassThroughES15_S15_Li16ELi128ELi4ELi16ELi16ELi4ELi1ELi1ENSI_IJLi16ELi16ELi1EEEENSI_IJLi1ELi0ELi2EEEES17_Li2ELi4ELi4ELb0ELb1ELi4ELb0ELi4ENSI_IJLi0ELi2ELi4ELi5ELi6ELi1ELi3ELi7EEEELi7ELi1EEEffSS_SX_S12_S15_S15_S15_NS_13TensorAdaptorINS4_IJNSB_IS6_Lb0EEES1B_NS_23Merge_v2_magic_divisionINS4_IJiiiiEEEEEEEENS4_IJSJ_SL_NSI_IJLi2ELi3ELi4ELi5EEEEEEENS4_IJNSI_IJLi2ELi4EEEENSI_IJLi3ELi5EEEENSI_IJLi6EEEEEEENSI_IJLi0ELi1EEEES1K_EELb0EEEvPKT0_S1Q_PT1_T2_T3_T4_T5_T6_T7_T8_.kd
    .uniform_work_group_size: 1
    .uses_dynamic_stack: false
    .vgpr_count:     14
    .vgpr_spill_count: 0
    .wavefront_size: 32
    .workgroup_processor_mode: 1
amdhsa.target:   amdgcn-amd-amdhsa--gfx1201
amdhsa.version:
  - 1
  - 2
...

	.end_amdgpu_metadata
